;; amdgpu-corpus repo=ROCm/rocFFT kind=compiled arch=gfx906 opt=O3
	.text
	.amdgcn_target "amdgcn-amd-amdhsa--gfx906"
	.amdhsa_code_object_version 6
	.protected	bluestein_single_back_len3375_dim1_sp_op_CI_CI ; -- Begin function bluestein_single_back_len3375_dim1_sp_op_CI_CI
	.globl	bluestein_single_back_len3375_dim1_sp_op_CI_CI
	.p2align	8
	.type	bluestein_single_back_len3375_dim1_sp_op_CI_CI,@function
bluestein_single_back_len3375_dim1_sp_op_CI_CI: ; @bluestein_single_back_len3375_dim1_sp_op_CI_CI
; %bb.0:
	s_load_dwordx4 s[16:19], s[4:5], 0x28
	v_mul_u32_u24_e32 v1, 0x124, v0
	v_add_u32_sdwa v124, s6, v1 dst_sel:DWORD dst_unused:UNUSED_PAD src0_sel:DWORD src1_sel:WORD_1
	v_mov_b32_e32 v125, 0
	s_waitcnt lgkmcnt(0)
	v_cmp_gt_u64_e32 vcc, s[16:17], v[124:125]
	s_and_saveexec_b64 s[0:1], vcc
	s_cbranch_execz .LBB0_2
; %bb.1:
	s_load_dwordx4 s[0:3], s[4:5], 0x18
	s_load_dwordx4 s[8:11], s[4:5], 0x0
	s_movk_i32 s16, 0xe1
	v_mul_lo_u16_sdwa v1, v1, s16 dst_sel:DWORD dst_unused:UNUSED_PAD src0_sel:WORD_1 src1_sel:DWORD
	v_sub_u16_e32 v143, v0, v1
	s_waitcnt lgkmcnt(0)
	s_load_dwordx4 s[12:15], s[0:1], 0x0
	v_lshlrev_b32_e32 v141, 3, v143
	s_movk_i32 s7, 0x1000
	s_movk_i32 s6, 0x2000
	v_mov_b32_e32 v142, 0xffffb2a8
	s_waitcnt lgkmcnt(0)
	v_mad_u64_u32 v[0:1], s[0:1], s14, v124, 0
	v_mad_u64_u32 v[2:3], s[0:1], s12, v143, 0
	s_movk_i32 s14, 0x3000
	global_load_dwordx2 v[137:138], v141, s[8:9]
	v_mad_u64_u32 v[4:5], s[0:1], s15, v124, v[1:2]
	v_add_u32_e32 v145, 0x1c00, v141
	v_add_u32_e32 v166, 0x3100, v141
	v_mad_u64_u32 v[5:6], s[0:1], s13, v143, v[3:4]
	v_mov_b32_e32 v1, v4
	v_lshlrev_b64 v[0:1], 3, v[0:1]
	v_mov_b32_e32 v6, s19
	v_mov_b32_e32 v3, v5
	v_add_co_u32_e32 v4, vcc, s18, v0
	v_addc_co_u32_e32 v5, vcc, v6, v1, vcc
	v_lshlrev_b64 v[0:1], 3, v[2:3]
	s_mul_i32 s0, s13, 0x1518
	v_add_co_u32_e32 v0, vcc, v4, v0
	v_addc_co_u32_e32 v1, vcc, v5, v1, vcc
	v_mov_b32_e32 v4, s9
	v_add_co_u32_e32 v151, vcc, s8, v141
	s_mul_hi_u32 s1, s12, 0x1518
	v_addc_co_u32_e32 v152, vcc, 0, v4, vcc
	s_add_i32 s0, s1, s0
	s_mul_i32 s1, s12, 0x1518
	global_load_dwordx2 v[2:3], v[0:1], off
	v_mov_b32_e32 v4, s0
	v_add_co_u32_e32 v0, vcc, s1, v0
	v_addc_co_u32_e32 v1, vcc, v1, v4, vcc
	v_add_co_u32_e32 v6, vcc, s7, v151
	v_addc_co_u32_e32 v7, vcc, 0, v152, vcc
	global_load_dwordx2 v[4:5], v[0:1], off
	v_mov_b32_e32 v8, s0
	v_add_co_u32_e32 v0, vcc, s1, v0
	v_addc_co_u32_e32 v1, vcc, v1, v8, vcc
	v_add_co_u32_e32 v10, vcc, s6, v151
	v_addc_co_u32_e32 v11, vcc, 0, v152, vcc
	;; [unrolled: 6-line block ×3, first 2 shown]
	global_load_dwordx2 v[12:13], v[0:1], off
	v_mov_b32_e32 v16, s0
	v_add_co_u32_e32 v0, vcc, s1, v0
	v_addc_co_u32_e32 v1, vcc, v1, v16, vcc
	s_movk_i32 s14, 0x5000
	global_load_dwordx2 v[16:17], v[0:1], off
	v_add_co_u32_e32 v18, vcc, s14, v151
	v_mad_u64_u32 v[0:1], s[14:15], s12, v142, v[0:1]
	s_mulk_i32 s13, 0xb2a8
	s_sub_i32 s14, s13, s12
	v_addc_co_u32_e32 v19, vcc, 0, v152, vcc
	v_add_u32_e32 v1, s14, v1
	global_load_dwordx2 v[135:136], v[6:7], off offset:1304
	global_load_dwordx2 v[133:134], v[10:11], off offset:2608
	global_load_dwordx2 v[131:132], v[14:15], off offset:3912
	global_load_dwordx2 v[129:130], v[18:19], off offset:1120
	global_load_dwordx2 v[20:21], v[0:1], off
	global_load_dwordx2 v[127:128], v141, s[8:9] offset:1800
	v_mov_b32_e32 v22, s0
	v_add_co_u32_e32 v0, vcc, s1, v0
	v_addc_co_u32_e32 v1, vcc, v1, v22, vcc
	global_load_dwordx2 v[22:23], v[0:1], off
	global_load_dwordx2 v[122:123], v[6:7], off offset:3104
	v_mov_b32_e32 v6, s0
	v_add_co_u32_e32 v0, vcc, s1, v0
	v_addc_co_u32_e32 v1, vcc, v1, v6, vcc
	global_load_dwordx2 v[6:7], v[0:1], off
	global_load_dwordx2 v[120:121], v[14:15], off offset:312
	v_mov_b32_e32 v24, s0
	v_add_co_u32_e32 v0, vcc, s1, v0
	v_addc_co_u32_e32 v1, vcc, v1, v24, vcc
	s_movk_i32 s13, 0x4000
	v_add_co_u32_e32 v26, vcc, s13, v151
	v_addc_co_u32_e32 v27, vcc, 0, v152, vcc
	global_load_dwordx2 v[24:25], v[0:1], off
	v_mov_b32_e32 v28, s0
	v_add_co_u32_e32 v0, vcc, s1, v0
	v_addc_co_u32_e32 v1, vcc, v1, v28, vcc
	v_mad_u64_u32 v[28:29], s[12:13], s12, v142, v[0:1]
	global_load_dwordx2 v[125:126], v[26:27], off offset:1616
	global_load_dwordx2 v[30:31], v[0:1], off
	global_load_dwordx2 v[118:119], v[18:19], off offset:2920
	v_mov_b32_e32 v19, s0
	v_add_u32_e32 v29, s14, v29
	v_add_co_u32_e32 v18, vcc, s1, v28
	v_addc_co_u32_e32 v19, vcc, v29, v19, vcc
	global_load_dwordx2 v[0:1], v[28:29], off
	global_load_dwordx2 v[116:117], v141, s[8:9] offset:3600
	s_nop 0
	global_load_dwordx2 v[28:29], v[18:19], off
	global_load_dwordx2 v[114:115], v[10:11], off offset:808
	v_mov_b32_e32 v11, s0
	v_add_co_u32_e32 v10, vcc, s1, v18
	v_addc_co_u32_e32 v11, vcc, v19, v11, vcc
	global_load_dwordx2 v[18:19], v[10:11], off
	global_load_dwordx2 v[112:113], v[14:15], off offset:2112
	v_mov_b32_e32 v14, s0
	v_add_co_u32_e32 v10, vcc, s1, v10
	v_addc_co_u32_e32 v11, vcc, v11, v14, vcc
	;; [unrolled: 5-line block ×3, first 2 shown]
	s_movk_i32 s0, 0x6000
	v_add_co_u32_e32 v139, vcc, s0, v151
	v_addc_co_u32_e32 v140, vcc, 0, v152, vcc
	global_load_dwordx2 v[10:11], v[10:11], off
	s_waitcnt vmcnt(27)
	v_mul_f32_e32 v26, v3, v138
	global_load_dwordx2 v[108:109], v[139:140], off offset:624
	v_fmac_f32_e32 v26, v2, v137
	v_mul_f32_e32 v2, v2, v138
	v_fma_f32 v27, v3, v137, -v2
	v_add_u32_e32 v144, 0x4600, v141
	v_add_u32_e32 v167, 0x5b00, v141
	;; [unrolled: 1-line block ×4, first 2 shown]
	s_load_dwordx4 s[0:3], s[2:3], 0x0
	v_add_u32_e32 v149, 0xe00, v141
	v_add_u32_e32 v146, 0x5400, v141
	v_add_co_u32_e32 v88, vcc, s16, v143
	s_waitcnt vmcnt(23)
	v_mul_f32_e32 v2, v5, v136
	v_mul_f32_e32 v3, v4, v136
	v_fmac_f32_e32 v2, v4, v135
	v_fma_f32 v3, v5, v135, -v3
	ds_write_b64 v141, v[2:3] offset:5400
	s_waitcnt vmcnt(22)
	v_mul_f32_e32 v2, v9, v134
	v_mul_f32_e32 v3, v8, v134
	v_fmac_f32_e32 v2, v8, v133
	v_fma_f32 v3, v9, v133, -v3
	ds_write_b64 v141, v[2:3] offset:10800
	;; [unrolled: 6-line block ×4, first 2 shown]
	s_waitcnt vmcnt(18)
	v_mul_f32_e32 v2, v21, v128
	v_mul_f32_e32 v3, v20, v128
	v_fmac_f32_e32 v2, v20, v127
	v_fma_f32 v3, v21, v127, -v3
	ds_write2_b64 v141, v[26:27], v[2:3] offset1:225
	s_waitcnt vmcnt(16)
	v_mul_f32_e32 v2, v23, v123
	v_mul_f32_e32 v3, v22, v123
	v_fmac_f32_e32 v2, v22, v122
	v_fma_f32 v3, v23, v122, -v3
	s_waitcnt vmcnt(14)
	v_mul_f32_e32 v4, v7, v121
	v_mul_f32_e32 v5, v6, v121
	v_fmac_f32_e32 v4, v6, v120
	v_fma_f32 v5, v7, v120, -v5
	;; [unrolled: 5-line block ×4, first 2 shown]
	s_waitcnt vmcnt(8)
	v_mul_f32_e32 v12, v1, v117
	v_fmac_f32_e32 v12, v0, v116
	v_mul_f32_e32 v0, v0, v117
	v_fma_f32 v13, v1, v116, -v0
	s_waitcnt vmcnt(6)
	v_mul_f32_e32 v0, v29, v115
	v_mul_f32_e32 v1, v28, v115
	v_fmac_f32_e32 v0, v28, v114
	v_fma_f32 v1, v29, v114, -v1
	ds_write2_b64 v145, v[2:3], v[0:1] offset0:4 offset1:229
	s_waitcnt vmcnt(4)
	v_mul_f32_e32 v0, v19, v113
	v_mul_f32_e32 v1, v18, v113
	v_fmac_f32_e32 v0, v18, v112
	v_fma_f32 v1, v19, v112, -v1
	ds_write2_b64 v166, v[4:5], v[0:1] offset0:7 offset1:232
	;; [unrolled: 6-line block ×3, first 2 shown]
	ds_write_b64 v141, v[12:13] offset:3600
	v_addc_co_u32_e64 v44, s[8:9], 0, 0, vcc
	s_movk_i32 s8, 0x1c2
	v_add_co_u32_e32 v96, vcc, s8, v143
	s_movk_i32 s8, 0xcd
	s_waitcnt vmcnt(0)
	v_mul_f32_e32 v0, v11, v109
	v_mul_f32_e32 v1, v10, v109
	v_fmac_f32_e32 v0, v10, v108
	v_fma_f32 v1, v11, v108, -v1
	ds_write2_b64 v167, v[8:9], v[0:1] offset0:13 offset1:238
	s_waitcnt lgkmcnt(0)
	s_barrier
	ds_read2_b64 v[8:11], v148 offset0:6 offset1:231
	ds_read2_b64 v[12:15], v147 offset0:8 offset1:233
	ds_read2_b64 v[0:3], v141 offset1:225
	ds_read2_b64 v[4:7], v149 offset0:2 offset1:227
	ds_read2_b64 v[16:19], v146 offset0:12 offset1:237
	;; [unrolled: 1-line block ×4, first 2 shown]
	ds_read_b64 v[28:29], v141 offset:25200
	s_waitcnt lgkmcnt(0)
	v_add_f32_e32 v31, v8, v14
	v_fma_f32 v32, -0.5, v31, v0
	v_sub_f32_e32 v31, v7, v17
	v_mov_b32_e32 v34, v32
	v_fmac_f32_e32 v34, 0x3f737871, v31
	v_sub_f32_e32 v33, v9, v15
	v_sub_f32_e32 v35, v6, v8
	;; [unrolled: 1-line block ×3, first 2 shown]
	v_fmac_f32_e32 v32, 0xbf737871, v31
	v_fmac_f32_e32 v34, 0x3f167918, v33
	v_add_f32_e32 v35, v35, v36
	v_fmac_f32_e32 v32, 0xbf167918, v33
	v_fmac_f32_e32 v34, 0x3e9e377a, v35
	;; [unrolled: 1-line block ×3, first 2 shown]
	v_add_f32_e32 v35, v6, v16
	v_add_f32_e32 v30, v0, v6
	v_fma_f32 v0, -0.5, v35, v0
	v_mov_b32_e32 v36, v0
	v_fmac_f32_e32 v36, 0xbf737871, v33
	v_sub_f32_e32 v35, v8, v6
	v_sub_f32_e32 v37, v14, v16
	v_fmac_f32_e32 v0, 0x3f737871, v33
	v_add_f32_e32 v33, v9, v15
	v_add_f32_e32 v30, v30, v8
	v_fmac_f32_e32 v36, 0x3f167918, v31
	v_add_f32_e32 v35, v35, v37
	v_fmac_f32_e32 v0, 0xbf167918, v31
	v_fma_f32 v33, -0.5, v33, v1
	v_add_f32_e32 v30, v30, v14
	v_fmac_f32_e32 v36, 0x3e9e377a, v35
	v_fmac_f32_e32 v0, 0x3e9e377a, v35
	v_sub_f32_e32 v6, v6, v16
	v_mov_b32_e32 v35, v33
	v_add_f32_e32 v30, v30, v16
	v_fmac_f32_e32 v35, 0xbf737871, v6
	v_sub_f32_e32 v8, v8, v14
	v_sub_f32_e32 v14, v7, v9
	;; [unrolled: 1-line block ×3, first 2 shown]
	v_fmac_f32_e32 v33, 0x3f737871, v6
	v_fmac_f32_e32 v35, 0xbf167918, v8
	v_add_f32_e32 v14, v14, v16
	v_fmac_f32_e32 v33, 0x3f167918, v8
	v_fmac_f32_e32 v35, 0x3e9e377a, v14
	v_fmac_f32_e32 v33, 0x3e9e377a, v14
	v_add_f32_e32 v14, v7, v17
	v_add_f32_e32 v31, v1, v7
	v_fma_f32 v1, -0.5, v14, v1
	v_mov_b32_e32 v37, v1
	v_add_f32_e32 v31, v31, v9
	v_fmac_f32_e32 v37, 0x3f737871, v8
	v_sub_f32_e32 v7, v9, v7
	v_sub_f32_e32 v9, v15, v17
	v_fmac_f32_e32 v1, 0xbf737871, v8
	v_fmac_f32_e32 v37, 0xbf167918, v6
	v_add_f32_e32 v7, v7, v9
	v_fmac_f32_e32 v1, 0x3f167918, v6
	v_fmac_f32_e32 v37, 0x3e9e377a, v7
	;; [unrolled: 1-line block ×3, first 2 shown]
	v_add_f32_e32 v7, v10, v24
	v_fma_f32 v8, -0.5, v7, v2
	v_sub_f32_e32 v7, v21, v19
	v_mov_b32_e32 v14, v8
	v_add_f32_e32 v31, v31, v15
	v_fmac_f32_e32 v14, 0x3f737871, v7
	v_sub_f32_e32 v9, v11, v25
	v_sub_f32_e32 v15, v20, v10
	;; [unrolled: 1-line block ×3, first 2 shown]
	v_fmac_f32_e32 v8, 0xbf737871, v7
	v_fmac_f32_e32 v14, 0x3f167918, v9
	v_add_f32_e32 v15, v15, v16
	v_fmac_f32_e32 v8, 0xbf167918, v9
	v_fmac_f32_e32 v14, 0x3e9e377a, v15
	;; [unrolled: 1-line block ×3, first 2 shown]
	v_add_f32_e32 v15, v20, v18
	v_add_f32_e32 v6, v2, v20
	v_fma_f32 v2, -0.5, v15, v2
	v_mov_b32_e32 v16, v2
	v_add_f32_e32 v31, v31, v17
	v_add_f32_e32 v6, v6, v10
	v_fmac_f32_e32 v16, 0xbf737871, v9
	v_sub_f32_e32 v15, v10, v20
	v_sub_f32_e32 v17, v24, v18
	v_fmac_f32_e32 v2, 0x3f737871, v9
	v_add_f32_e32 v9, v11, v25
	v_add_f32_e32 v6, v6, v24
	v_fmac_f32_e32 v16, 0x3f167918, v7
	v_add_f32_e32 v15, v15, v17
	v_fmac_f32_e32 v2, 0xbf167918, v7
	v_fma_f32 v9, -0.5, v9, v3
	v_add_f32_e32 v6, v6, v18
	v_fmac_f32_e32 v16, 0x3e9e377a, v15
	v_fmac_f32_e32 v2, 0x3e9e377a, v15
	v_sub_f32_e32 v18, v20, v18
	v_mov_b32_e32 v15, v9
	v_fmac_f32_e32 v15, 0xbf737871, v18
	v_sub_f32_e32 v10, v10, v24
	v_sub_f32_e32 v17, v21, v11
	;; [unrolled: 1-line block ×3, first 2 shown]
	v_fmac_f32_e32 v9, 0x3f737871, v18
	v_fmac_f32_e32 v15, 0xbf167918, v10
	v_add_f32_e32 v17, v17, v20
	v_fmac_f32_e32 v9, 0x3f167918, v10
	v_add_f32_e32 v7, v3, v21
	v_fmac_f32_e32 v15, 0x3e9e377a, v17
	v_fmac_f32_e32 v9, 0x3e9e377a, v17
	v_add_f32_e32 v17, v21, v19
	v_add_f32_e32 v7, v7, v11
	v_fmac_f32_e32 v3, -0.5, v17
	v_add_f32_e32 v7, v7, v25
	v_mov_b32_e32 v17, v3
	v_add_f32_e32 v7, v7, v19
	v_fmac_f32_e32 v17, 0x3f737871, v10
	v_sub_f32_e32 v11, v11, v21
	v_sub_f32_e32 v19, v25, v19
	v_fmac_f32_e32 v3, 0xbf737871, v10
	v_fmac_f32_e32 v17, 0xbf167918, v18
	v_add_f32_e32 v11, v11, v19
	v_fmac_f32_e32 v3, 0x3f167918, v18
	v_fmac_f32_e32 v17, 0x3e9e377a, v11
	;; [unrolled: 1-line block ×3, first 2 shown]
	v_add_f32_e32 v11, v12, v26
	v_fma_f32 v18, -0.5, v11, v4
	v_sub_f32_e32 v11, v23, v29
	v_mov_b32_e32 v20, v18
	v_fmac_f32_e32 v20, 0x3f737871, v11
	v_sub_f32_e32 v19, v13, v27
	v_sub_f32_e32 v21, v22, v12
	;; [unrolled: 1-line block ×3, first 2 shown]
	v_fmac_f32_e32 v18, 0xbf737871, v11
	v_fmac_f32_e32 v20, 0x3f167918, v19
	v_add_f32_e32 v21, v21, v24
	v_fmac_f32_e32 v18, 0xbf167918, v19
	v_fmac_f32_e32 v20, 0x3e9e377a, v21
	;; [unrolled: 1-line block ×3, first 2 shown]
	v_add_f32_e32 v21, v22, v28
	v_add_f32_e32 v10, v4, v22
	v_fma_f32 v4, -0.5, v21, v4
	v_mov_b32_e32 v24, v4
	v_fmac_f32_e32 v24, 0xbf737871, v19
	v_sub_f32_e32 v21, v12, v22
	v_sub_f32_e32 v25, v26, v28
	v_fmac_f32_e32 v4, 0x3f737871, v19
	v_add_f32_e32 v19, v13, v27
	v_fmac_f32_e32 v24, 0x3f167918, v11
	v_add_f32_e32 v21, v21, v25
	v_fmac_f32_e32 v4, 0xbf167918, v11
	v_fma_f32 v19, -0.5, v19, v5
	v_add_f32_e32 v10, v10, v12
	v_fmac_f32_e32 v24, 0x3e9e377a, v21
	v_fmac_f32_e32 v4, 0x3e9e377a, v21
	v_sub_f32_e32 v22, v22, v28
	v_mov_b32_e32 v21, v19
	v_add_f32_e32 v10, v10, v26
	v_fmac_f32_e32 v21, 0xbf737871, v22
	v_sub_f32_e32 v12, v12, v26
	v_sub_f32_e32 v25, v23, v13
	;; [unrolled: 1-line block ×3, first 2 shown]
	v_fmac_f32_e32 v19, 0x3f737871, v22
	v_fmac_f32_e32 v21, 0xbf167918, v12
	v_add_f32_e32 v25, v25, v26
	v_fmac_f32_e32 v19, 0x3f167918, v12
	v_fmac_f32_e32 v21, 0x3e9e377a, v25
	;; [unrolled: 1-line block ×3, first 2 shown]
	v_add_f32_e32 v25, v23, v29
	v_add_f32_e32 v11, v5, v23
	v_fmac_f32_e32 v5, -0.5, v25
	v_mov_b32_e32 v25, v5
	v_fmac_f32_e32 v25, 0x3f737871, v12
	v_fmac_f32_e32 v5, 0xbf737871, v12
	v_mul_lo_u16_e32 v12, 5, v143
	v_lshlrev_b32_e32 v165, 3, v12
	s_barrier
	ds_write2_b64 v165, v[30:31], v[34:35] offset1:1
	ds_write2_b64 v165, v[36:37], v[0:1] offset0:2 offset1:3
	ds_write_b64 v165, v[32:33] offset:32
	v_mul_u32_u24_e32 v0, 5, v88
	v_lshlrev_b32_e32 v160, 3, v0
	v_mul_u32_u24_e32 v0, 5, v96
	v_lshlrev_b32_e32 v155, 3, v0
	v_mul_lo_u16_sdwa v0, v143, s8 dst_sel:DWORD dst_unused:UNUSED_PAD src0_sel:BYTE_0 src1_sel:DWORD
	v_lshrrev_b16_e32 v55, 10, v0
	v_mul_lo_u16_e32 v0, 5, v55
	v_add_f32_e32 v11, v11, v13
	v_sub_f32_e32 v13, v13, v23
	v_sub_f32_e32 v23, v27, v29
	v_sub_u16_e32 v0, v143, v0
	v_add_f32_e32 v11, v11, v27
	v_add_f32_e32 v13, v13, v23
	v_fmac_f32_e32 v5, 0x3f167918, v22
	v_and_b32_e32 v56, 0xff, v0
	v_add_f32_e32 v10, v10, v28
	v_add_f32_e32 v11, v11, v29
	v_fmac_f32_e32 v25, 0xbf167918, v22
	v_fmac_f32_e32 v5, 0x3e9e377a, v13
	v_lshlrev_b32_e32 v0, 5, v56
	s_mov_b32 s8, 0xcccd
	v_fmac_f32_e32 v25, 0x3e9e377a, v13
	ds_write2_b64 v160, v[6:7], v[14:15] offset1:1
	ds_write2_b64 v160, v[16:17], v[2:3] offset0:2 offset1:3
	ds_write_b64 v160, v[8:9] offset:32
	ds_write2_b64 v155, v[10:11], v[20:21] offset1:1
	ds_write2_b64 v155, v[24:25], v[4:5] offset0:2 offset1:3
	ds_write_b64 v155, v[18:19] offset:32
	s_waitcnt lgkmcnt(0)
	s_barrier
	global_load_dwordx4 v[4:7], v0, s[10:11]
	global_load_dwordx4 v[16:19], v0, s[10:11] offset:16
	v_mul_u32_u24_sdwa v0, v88, s8 dst_sel:DWORD dst_unused:UNUSED_PAD src0_sel:WORD_0 src1_sel:DWORD
	v_lshrrev_b32_e32 v57, 18, v0
	v_mul_lo_u16_e32 v0, 5, v57
	v_sub_u16_e32 v58, v88, v0
	v_lshlrev_b16_e32 v0, 2, v58
	v_lshlrev_b32_e32 v0, 3, v0
	global_load_dwordx4 v[20:23], v0, s[10:11]
	global_load_dwordx4 v[28:31], v0, s[10:11] offset:16
	v_mul_u32_u24_sdwa v0, v96, s8 dst_sel:DWORD dst_unused:UNUSED_PAD src0_sel:WORD_0 src1_sel:DWORD
	v_lshrrev_b32_e32 v59, 18, v0
	v_mul_lo_u16_e32 v0, 5, v59
	v_sub_u16_e32 v60, v96, v0
	v_lshlrev_b16_e32 v0, 2, v60
	v_lshlrev_b32_e32 v0, 3, v0
	global_load_dwordx4 v[32:35], v0, s[10:11]
	global_load_dwordx4 v[36:39], v0, s[10:11] offset:16
	ds_read2_b64 v[0:3], v141 offset1:225
	ds_read2_b64 v[8:11], v149 offset0:2 offset1:227
	ds_read2_b64 v[12:15], v148 offset0:6 offset1:231
	;; [unrolled: 1-line block ×6, first 2 shown]
	ds_read_b64 v[53:54], v141 offset:25200
	v_mul_u32_u24_e32 v55, 25, v55
	v_add_lshl_u32 v164, v55, v56, 3
	s_waitcnt vmcnt(0) lgkmcnt(0)
	s_barrier
	s_movk_i32 s8, 0x47af
	v_mov_b32_e32 v104, s11
	s_movk_i32 s9, 0xff83
	s_movk_i32 s14, 0x96
	s_load_dwordx2 s[4:5], s[4:5], 0x38
	v_mul_f32_e32 v61, v11, v5
	v_fma_f32 v61, v10, v4, -v61
	v_mul_f32_e32 v62, v10, v5
	v_mul_f32_e32 v10, v13, v7
	v_fma_f32 v63, v12, v6, -v10
	v_mul_f32_e32 v64, v12, v7
	v_mul_f32_e32 v10, v27, v17
	v_fmac_f32_e32 v64, v13, v6
	v_fma_f32 v13, v26, v16, -v10
	v_mul_f32_e32 v10, v41, v19
	v_fma_f32 v66, v40, v18, -v10
	v_mul_f32_e32 v40, v40, v19
	v_mul_f32_e32 v10, v46, v21
	v_fmac_f32_e32 v40, v41, v18
	v_fma_f32 v41, v45, v20, -v10
	v_mul_f32_e32 v10, v15, v23
	v_fma_f32 v67, v14, v22, -v10
	v_mul_f32_e32 v10, v50, v29
	;; [unrolled: 2-line block ×4, first 2 shown]
	v_mul_f32_e32 v10, v48, v33
	v_fmac_f32_e32 v49, v50, v28
	v_fma_f32 v50, v47, v32, -v10
	v_mul_f32_e32 v10, v25, v35
	v_fma_f32 v74, v24, v34, -v10
	v_mul_f32_e32 v10, v52, v37
	;; [unrolled: 2-line block ×3, first 2 shown]
	v_mul_f32_e32 v10, v54, v39
	v_fmac_f32_e32 v77, v52, v36
	v_fma_f32 v52, v53, v38, -v10
	v_add_f32_e32 v10, v63, v13
	v_fmac_f32_e32 v62, v11, v4
	v_mul_f32_e32 v65, v26, v17
	v_fma_f32 v10, -0.5, v10, v0
	v_fmac_f32_e32 v65, v27, v16
	v_mul_f32_e32 v68, v14, v23
	v_sub_f32_e32 v11, v62, v40
	v_mov_b32_e32 v12, v10
	v_fmac_f32_e32 v68, v15, v22
	v_mul_f32_e32 v75, v24, v35
	v_fmac_f32_e32 v12, 0x3f737871, v11
	v_sub_f32_e32 v15, v64, v65
	v_sub_f32_e32 v14, v61, v63
	v_sub_f32_e32 v24, v66, v13
	v_fmac_f32_e32 v10, 0xbf737871, v11
	v_fmac_f32_e32 v12, 0x3f167918, v15
	v_add_f32_e32 v14, v14, v24
	v_fmac_f32_e32 v10, 0xbf167918, v15
	v_fmac_f32_e32 v12, 0x3e9e377a, v14
	;; [unrolled: 1-line block ×3, first 2 shown]
	v_add_f32_e32 v14, v61, v66
	v_fmac_f32_e32 v75, v25, v34
	v_sub_f32_e32 v24, v63, v61
	v_sub_f32_e32 v25, v13, v66
	v_fma_f32 v14, -0.5, v14, v0
	v_add_f32_e32 v25, v24, v25
	v_mov_b32_e32 v24, v14
	v_fmac_f32_e32 v24, 0xbf737871, v15
	v_fmac_f32_e32 v14, 0x3f737871, v15
	v_add_f32_e32 v0, v0, v61
	v_fmac_f32_e32 v24, 0x3f167918, v11
	v_fmac_f32_e32 v14, 0xbf167918, v11
	v_add_f32_e32 v0, v0, v63
	v_add_f32_e32 v11, v1, v62
	;; [unrolled: 1-line block ×7, first 2 shown]
	v_mul_f32_e32 v72, v42, v31
	v_add_f32_e32 v27, v11, v40
	v_fma_f32 v11, -0.5, v0, v1
	v_sub_f32_e32 v42, v63, v13
	v_sub_f32_e32 v13, v62, v64
	;; [unrolled: 1-line block ×4, first 2 shown]
	v_add_f32_e32 v15, v13, v15
	v_mov_b32_e32 v13, v11
	v_fmac_f32_e32 v13, 0xbf737871, v0
	v_fmac_f32_e32 v11, 0x3f737871, v0
	;; [unrolled: 1-line block ×6, first 2 shown]
	v_add_f32_e32 v15, v62, v40
	v_fma_f32 v15, -0.5, v15, v1
	v_fmac_f32_e32 v24, 0x3e9e377a, v25
	v_fmac_f32_e32 v14, 0x3e9e377a, v25
	v_mov_b32_e32 v25, v15
	v_fmac_f32_e32 v25, 0x3f737871, v42
	v_fmac_f32_e32 v15, 0xbf737871, v42
	v_mul_f32_e32 v69, v45, v21
	v_fmac_f32_e32 v25, 0xbf167918, v0
	v_sub_f32_e32 v1, v64, v62
	v_sub_f32_e32 v40, v65, v40
	v_fmac_f32_e32 v15, 0x3f167918, v0
	v_add_f32_e32 v0, v67, v70
	v_fmac_f32_e32 v69, v46, v20
	v_fmac_f32_e32 v72, v43, v30
	v_add_f32_e32 v1, v1, v40
	v_fma_f32 v0, -0.5, v0, v2
	v_fmac_f32_e32 v25, 0x3e9e377a, v1
	v_fmac_f32_e32 v15, 0x3e9e377a, v1
	v_sub_f32_e32 v1, v69, v72
	v_mov_b32_e32 v40, v0
	v_sub_f32_e32 v42, v41, v67
	v_sub_f32_e32 v43, v71, v70
	v_fmac_f32_e32 v40, 0x3f737871, v1
	v_add_f32_e32 v42, v42, v43
	v_sub_f32_e32 v43, v68, v49
	v_fmac_f32_e32 v0, 0xbf737871, v1
	v_fmac_f32_e32 v40, 0x3f167918, v43
	;; [unrolled: 1-line block ×5, first 2 shown]
	v_add_f32_e32 v42, v41, v71
	v_add_f32_e32 v45, v2, v41
	v_fma_f32 v2, -0.5, v42, v2
	v_sub_f32_e32 v42, v67, v41
	v_sub_f32_e32 v46, v70, v71
	v_add_f32_e32 v46, v42, v46
	v_mov_b32_e32 v42, v2
	v_fmac_f32_e32 v42, 0xbf737871, v43
	v_fmac_f32_e32 v2, 0x3f737871, v43
	;; [unrolled: 1-line block ×4, first 2 shown]
	v_add_f32_e32 v1, v45, v67
	v_add_f32_e32 v43, v3, v69
	;; [unrolled: 1-line block ×7, first 2 shown]
	v_mul_f32_e32 v73, v47, v33
	v_fmac_f32_e32 v42, 0x3e9e377a, v46
	v_fmac_f32_e32 v2, 0x3e9e377a, v46
	v_add_f32_e32 v46, v43, v72
	v_fma_f32 v1, -0.5, v1, v3
	v_sub_f32_e32 v47, v41, v71
	v_sub_f32_e32 v41, v69, v68
	;; [unrolled: 1-line block ×3, first 2 shown]
	v_add_f32_e32 v43, v41, v43
	v_mov_b32_e32 v41, v1
	v_fmac_f32_e32 v73, v48, v32
	v_sub_f32_e32 v48, v67, v70
	v_fmac_f32_e32 v41, 0xbf737871, v47
	v_fmac_f32_e32 v1, 0x3f737871, v47
	;; [unrolled: 1-line block ×6, first 2 shown]
	v_add_f32_e32 v43, v69, v72
	v_fmac_f32_e32 v3, -0.5, v43
	v_mov_b32_e32 v43, v3
	v_fmac_f32_e32 v43, 0x3f737871, v48
	v_fmac_f32_e32 v3, 0xbf737871, v48
	v_mul_f32_e32 v78, v53, v39
	v_fmac_f32_e32 v43, 0xbf167918, v47
	v_sub_f32_e32 v51, v68, v69
	v_sub_f32_e32 v49, v49, v72
	v_fmac_f32_e32 v3, 0x3f167918, v47
	v_add_f32_e32 v47, v74, v76
	v_fmac_f32_e32 v78, v54, v38
	v_add_f32_e32 v49, v51, v49
	v_fma_f32 v47, -0.5, v47, v8
	v_fmac_f32_e32 v43, 0x3e9e377a, v49
	v_fmac_f32_e32 v3, 0x3e9e377a, v49
	v_sub_f32_e32 v48, v73, v78
	v_mov_b32_e32 v49, v47
	v_sub_f32_e32 v51, v50, v74
	v_sub_f32_e32 v53, v52, v76
	v_fmac_f32_e32 v49, 0x3f737871, v48
	v_add_f32_e32 v51, v51, v53
	v_sub_f32_e32 v53, v75, v77
	v_fmac_f32_e32 v47, 0xbf737871, v48
	v_fmac_f32_e32 v49, 0x3f167918, v53
	;; [unrolled: 1-line block ×5, first 2 shown]
	v_add_f32_e32 v51, v50, v52
	v_add_f32_e32 v54, v8, v50
	v_fma_f32 v8, -0.5, v51, v8
	v_sub_f32_e32 v51, v74, v50
	v_sub_f32_e32 v61, v76, v52
	v_add_f32_e32 v61, v51, v61
	v_mov_b32_e32 v51, v8
	v_fmac_f32_e32 v51, 0xbf737871, v53
	v_fmac_f32_e32 v8, 0x3f737871, v53
	;; [unrolled: 1-line block ×4, first 2 shown]
	v_add_f32_e32 v48, v54, v74
	v_add_f32_e32 v53, v9, v73
	;; [unrolled: 1-line block ×7, first 2 shown]
	ds_write2_b64 v164, v[26:27], v[12:13] offset1:5
	ds_write2_b64 v164, v[24:25], v[14:15] offset0:10 offset1:15
	ds_write_b64 v164, v[10:11] offset:160
	v_mad_legacy_u16 v10, v57, 25, v58
	v_fmac_f32_e32 v51, 0x3e9e377a, v61
	v_fmac_f32_e32 v8, 0x3e9e377a, v61
	v_fma_f32 v48, -0.5, v48, v9
	v_sub_f32_e32 v61, v50, v52
	v_sub_f32_e32 v50, v73, v75
	;; [unrolled: 1-line block ×3, first 2 shown]
	v_lshlrev_b32_e32 v157, 3, v10
	v_add_f32_e32 v52, v50, v52
	v_mov_b32_e32 v50, v48
	ds_write2_b64 v157, v[45:46], v[40:41] offset1:5
	ds_write2_b64 v157, v[42:43], v[2:3] offset0:10 offset1:15
	ds_write_b64 v157, v[0:1] offset:160
	v_mad_legacy_u16 v0, v59, 25, v60
	v_sub_f32_e32 v62, v74, v76
	v_fmac_f32_e32 v50, 0xbf737871, v61
	v_fmac_f32_e32 v48, 0x3f737871, v61
	v_lshlrev_b32_e32 v153, 3, v0
	v_mov_b32_e32 v0, 41
	v_fmac_f32_e32 v50, 0xbf167918, v62
	v_fmac_f32_e32 v48, 0x3f167918, v62
	v_mul_lo_u16_sdwa v0, v143, v0 dst_sel:DWORD dst_unused:UNUSED_PAD src0_sel:BYTE_0 src1_sel:DWORD
	v_fmac_f32_e32 v50, 0x3e9e377a, v52
	v_fmac_f32_e32 v48, 0x3e9e377a, v52
	v_add_f32_e32 v52, v73, v78
	v_lshrrev_b16_e32 v57, 10, v0
	v_fmac_f32_e32 v9, -0.5, v52
	v_mul_lo_u16_e32 v0, 25, v57
	v_mov_b32_e32 v52, v9
	v_sub_f32_e32 v63, v75, v73
	v_sub_f32_e32 v64, v77, v78
	v_fmac_f32_e32 v9, 0xbf737871, v62
	v_sub_u16_e32 v0, v143, v0
	v_fmac_f32_e32 v52, 0x3f737871, v62
	v_add_f32_e32 v63, v63, v64
	v_fmac_f32_e32 v9, 0x3f167918, v61
	v_and_b32_e32 v58, 0xff, v0
	v_add_f32_e32 v54, v54, v78
	v_fmac_f32_e32 v52, 0xbf167918, v61
	v_fmac_f32_e32 v9, 0x3e9e377a, v63
	v_lshlrev_b32_e32 v12, 5, v58
	v_fmac_f32_e32 v52, 0x3e9e377a, v63
	ds_write2_b64 v153, v[53:54], v[49:50] offset1:5
	ds_write2_b64 v153, v[51:52], v[8:9] offset0:10 offset1:15
	ds_write_b64 v153, v[47:48] offset:160
	s_waitcnt lgkmcnt(0)
	s_barrier
	global_load_dwordx4 v[8:11], v12, s[10:11] offset:176
	global_load_dwordx4 v[0:3], v12, s[10:11] offset:160
	v_mul_u32_u24_sdwa v12, v88, s8 dst_sel:DWORD dst_unused:UNUSED_PAD src0_sel:WORD_0 src1_sel:DWORD
	v_sub_u16_sdwa v13, v88, v12 dst_sel:DWORD dst_unused:UNUSED_PAD src0_sel:DWORD src1_sel:WORD_1
	v_lshrrev_b16_e32 v13, 1, v13
	v_add_u16_sdwa v12, v13, v12 dst_sel:DWORD dst_unused:UNUSED_PAD src0_sel:DWORD src1_sel:WORD_1
	v_lshrrev_b16_e32 v65, 4, v12
	v_mul_lo_u16_e32 v12, 25, v65
	v_sub_u16_e32 v66, v88, v12
	v_lshlrev_b16_e32 v12, 5, v66
	v_add_co_u32_e32 v40, vcc, s10, v12
	v_addc_co_u32_e32 v41, vcc, 0, v104, vcc
	global_load_dwordx4 v[12:15], v[40:41], off offset:160
	global_load_dwordx4 v[24:27], v[40:41], off offset:176
	ds_read2_b64 v[40:43], v149 offset0:2 offset1:227
	ds_read2_b64 v[45:48], v148 offset0:6 offset1:231
	;; [unrolled: 1-line block ×4, first 2 shown]
	ds_read_b64 v[63:64], v141 offset:25200
	s_waitcnt vmcnt(3) lgkmcnt(2)
	v_mul_f32_e32 v78, v51, v9
	s_waitcnt vmcnt(2)
	v_mul_f32_e32 v59, v43, v1
	v_fma_f32 v67, v42, v0, -v59
	v_mul_f32_e32 v68, v42, v1
	v_mul_f32_e32 v42, v46, v3
	v_fma_f32 v69, v45, v2, -v42
	v_mul_f32_e32 v42, v52, v9
	v_fma_f32 v71, v51, v8, -v42
	v_mul_f32_e32 v70, v45, v3
	v_fmac_f32_e32 v68, v43, v0
	v_fmac_f32_e32 v70, v46, v2
	s_waitcnt lgkmcnt(1)
	v_mul_f32_e32 v75, v53, v11
	v_fmac_f32_e32 v78, v52, v8
	s_waitcnt vmcnt(1)
	v_mul_f32_e32 v42, v48, v15
	v_fma_f32 v72, v47, v14, -v42
	v_mul_f32_e32 v42, v54, v11
	v_fma_f32 v74, v53, v10, -v42
	s_waitcnt vmcnt(0)
	v_mul_f32_e32 v42, v56, v27
	v_mul_f32_e32 v73, v47, v15
	v_fma_f32 v76, v55, v26, -v42
	v_mul_u32_u24_sdwa v42, v96, s8 dst_sel:DWORD dst_unused:UNUSED_PAD src0_sel:WORD_0 src1_sel:DWORD
	v_fmac_f32_e32 v73, v48, v14
	v_sub_u16_sdwa v43, v96, v42 dst_sel:DWORD dst_unused:UNUSED_PAD src0_sel:DWORD src1_sel:WORD_1
	ds_read2_b64 v[45:48], v141 offset1:225
	v_lshrrev_b16_e32 v43, 1, v43
	v_add_u16_sdwa v51, v43, v42 dst_sel:DWORD dst_unused:UNUSED_PAD src0_sel:DWORD src1_sel:WORD_1
	v_lshrrev_b16_e32 v90, 4, v51
	v_add_f32_e32 v52, v69, v71
	v_mul_lo_u16_e32 v51, 25, v90
	v_fmac_f32_e32 v75, v54, v10
	s_waitcnt lgkmcnt(0)
	v_fma_f32 v59, -0.5, v52, v45
	v_add_f32_e32 v52, v70, v78
	v_sub_u16_e32 v91, v96, v51
	v_fma_f32 v60, -0.5, v52, v46
	v_sub_f32_e32 v52, v68, v70
	v_sub_f32_e32 v53, v75, v78
	v_lshlrev_b16_e32 v51, 5, v91
	v_add_f32_e32 v89, v52, v53
	v_mul_u32_u24_e32 v52, 0x7d, v57
	v_add_co_u32_e32 v51, vcc, s10, v51
	v_add_lshl_u32 v150, v52, v58, 3
	v_addc_co_u32_e32 v52, vcc, 0, v104, vcc
	global_load_dwordx4 v[84:87], v[51:52], off offset:176
	global_load_dwordx4 v[80:83], v[51:52], off offset:160
	v_sub_f32_e32 v42, v67, v69
	v_sub_f32_e32 v43, v74, v71
	v_add_f32_e32 v79, v42, v43
	v_add_f32_e32 v42, v45, v67
	;; [unrolled: 1-line block ×3, first 2 shown]
	v_sub_f32_e32 v92, v68, v75
	v_mov_b32_e32 v61, v59
	v_mov_b32_e32 v62, v60
	v_sub_f32_e32 v94, v67, v74
	v_add_f32_e32 v42, v42, v69
	v_add_f32_e32 v43, v43, v70
	v_fmac_f32_e32 v61, 0x3f737871, v92
	v_sub_f32_e32 v93, v70, v78
	v_fmac_f32_e32 v62, 0xbf737871, v94
	v_sub_f32_e32 v95, v69, v71
	v_add_f32_e32 v42, v42, v71
	v_add_f32_e32 v43, v43, v78
	v_fmac_f32_e32 v61, 0x3f167918, v93
	v_fmac_f32_e32 v62, 0xbf167918, v95
	v_mul_f32_e32 v77, v55, v27
	v_add_f32_e32 v42, v42, v74
	v_add_f32_e32 v43, v43, v75
	v_fmac_f32_e32 v61, 0x3e9e377a, v79
	v_fmac_f32_e32 v62, 0x3e9e377a, v89
	;; [unrolled: 1-line block ×3, first 2 shown]
	ds_read2_b64 v[51:54], v145 offset0:4 offset1:229
	ds_read2_b64 v[55:58], v144 offset0:10 offset1:235
	s_waitcnt vmcnt(0) lgkmcnt(0)
	s_barrier
	ds_write2_b64 v150, v[42:43], v[61:62] offset1:25
	v_sub_f32_e32 v42, v69, v67
	v_add_f32_e32 v43, v67, v74
	v_sub_f32_e32 v61, v71, v74
	v_add_f32_e32 v61, v42, v61
	v_fma_f32 v42, -0.5, v43, v45
	v_mov_b32_e32 v45, v42
	v_fmac_f32_e32 v45, 0xbf737871, v93
	v_fmac_f32_e32 v42, 0x3f737871, v93
	;; [unrolled: 1-line block ×4, first 2 shown]
	v_add_f32_e32 v43, v68, v75
	v_fmac_f32_e32 v45, 0x3e9e377a, v61
	v_fmac_f32_e32 v42, 0x3e9e377a, v61
	v_fma_f32 v43, -0.5, v43, v46
	v_sub_f32_e32 v46, v70, v68
	v_sub_f32_e32 v61, v78, v75
	v_add_f32_e32 v61, v46, v61
	v_mov_b32_e32 v46, v43
	v_fmac_f32_e32 v46, 0x3f737871, v95
	v_fmac_f32_e32 v43, 0xbf737871, v95
	;; [unrolled: 1-line block ×10, first 2 shown]
	ds_write2_b64 v150, v[45:46], v[42:43] offset0:50 offset1:75
	v_fmac_f32_e32 v59, 0x3e9e377a, v79
	v_fmac_f32_e32 v60, 0x3e9e377a, v89
	v_mul_f32_e32 v42, v52, v13
	ds_write_b64 v150, v[59:60] offset:800
	v_fma_f32 v59, v51, v12, -v42
	v_mul_f32_e32 v42, v56, v25
	v_fma_f32 v60, v55, v24, -v42
	v_mul_f32_e32 v51, v51, v13
	v_add_f32_e32 v42, v72, v60
	v_add_f32_e32 v43, v59, v76
	v_fmac_f32_e32 v51, v52, v12
	v_mul_f32_e32 v52, v55, v25
	v_add_f32_e32 v61, v47, v59
	v_fma_f32 v42, -0.5, v42, v47
	v_fma_f32 v47, -0.5, v43, v47
	v_sub_f32_e32 v43, v72, v59
	v_sub_f32_e32 v45, v60, v76
	v_fmac_f32_e32 v52, v56, v24
	v_add_f32_e32 v43, v43, v45
	v_sub_f32_e32 v55, v73, v52
	v_mov_b32_e32 v45, v47
	v_fmac_f32_e32 v45, 0xbf737871, v55
	v_sub_f32_e32 v56, v51, v77
	v_fmac_f32_e32 v47, 0x3f737871, v55
	v_fmac_f32_e32 v45, 0x3f167918, v56
	;; [unrolled: 1-line block ×5, first 2 shown]
	v_add_f32_e32 v43, v73, v52
	v_add_f32_e32 v46, v51, v77
	v_fma_f32 v43, -0.5, v43, v48
	v_add_f32_e32 v62, v48, v51
	v_fmac_f32_e32 v48, -0.5, v46
	v_sub_f32_e32 v46, v73, v51
	v_sub_f32_e32 v67, v52, v77
	v_add_f32_e32 v67, v46, v67
	v_mov_b32_e32 v46, v48
	v_sub_f32_e32 v68, v72, v60
	v_fmac_f32_e32 v46, 0x3f737871, v68
	v_sub_f32_e32 v69, v59, v76
	v_fmac_f32_e32 v48, 0xbf737871, v68
	s_movk_i32 s8, 0x7d
	v_fmac_f32_e32 v46, 0xbf167918, v69
	v_fmac_f32_e32 v48, 0x3f167918, v69
	v_mad_legacy_u16 v65, v65, s8, v66
	v_fmac_f32_e32 v46, 0x3e9e377a, v67
	v_fmac_f32_e32 v48, 0x3e9e377a, v67
	v_lshlrev_b32_e32 v154, 3, v65
	ds_write2_b64 v154, v[45:46], v[47:48] offset0:50 offset1:75
	v_mul_f32_e32 v45, v54, v81
	v_fma_f32 v65, v53, v80, -v45
	v_mul_f32_e32 v53, v53, v81
	v_mul_f32_e32 v45, v50, v83
	v_sub_f32_e32 v46, v59, v72
	v_sub_f32_e32 v47, v76, v60
	v_fmac_f32_e32 v53, v54, v80
	v_fma_f32 v54, v49, v82, -v45
	v_mul_f32_e32 v66, v49, v83
	v_add_f32_e32 v49, v46, v47
	v_sub_f32_e32 v47, v51, v73
	v_sub_f32_e32 v48, v77, v52
	v_mul_f32_e32 v45, v58, v85
	v_add_f32_e32 v51, v47, v48
	v_mov_b32_e32 v47, v42
	v_mov_b32_e32 v48, v43
	v_fmac_f32_e32 v66, v50, v82
	v_fma_f32 v50, v57, v84, -v45
	v_add_f32_e32 v45, v61, v72
	v_add_f32_e32 v46, v62, v73
	v_fmac_f32_e32 v47, 0x3f737871, v56
	v_fmac_f32_e32 v48, 0xbf737871, v69
	v_add_f32_e32 v45, v45, v60
	v_add_f32_e32 v46, v46, v52
	v_fmac_f32_e32 v47, 0x3f167918, v55
	v_fmac_f32_e32 v48, 0xbf167918, v68
	;; [unrolled: 4-line block ×3, first 2 shown]
	ds_write2_b64 v154, v[45:46], v[47:48] offset1:25
	v_mul_f32_e32 v45, v64, v87
	v_fma_f32 v48, v63, v86, -v45
	v_mul_f32_e32 v57, v57, v85
	v_sub_f32_e32 v45, v65, v54
	v_sub_f32_e32 v46, v48, v50
	v_fmac_f32_e32 v57, v58, v84
	v_mul_f32_e32 v58, v63, v87
	v_fmac_f32_e32 v43, 0x3f737871, v69
	v_add_f32_e32 v46, v45, v46
	v_add_f32_e32 v45, v54, v50
	v_fmac_f32_e32 v58, v64, v86
	v_fmac_f32_e32 v43, 0x3f167918, v68
	v_fma_f32 v45, -0.5, v45, v40
	v_fmac_f32_e32 v42, 0xbf737871, v56
	v_fmac_f32_e32 v43, 0x3e9e377a, v51
	v_sub_f32_e32 v51, v53, v58
	v_mov_b32_e32 v47, v45
	v_fmac_f32_e32 v42, 0xbf167918, v55
	v_fmac_f32_e32 v47, 0x3f737871, v51
	v_sub_f32_e32 v52, v66, v57
	v_fmac_f32_e32 v45, 0xbf737871, v51
	v_fmac_f32_e32 v42, 0x3e9e377a, v49
	;; [unrolled: 1-line block ×4, first 2 shown]
	v_add_f32_e32 v49, v65, v48
	v_fmac_f32_e32 v47, 0x3e9e377a, v46
	v_fmac_f32_e32 v45, 0x3e9e377a, v46
	v_add_f32_e32 v46, v40, v65
	v_fma_f32 v40, -0.5, v49, v40
	v_sub_f32_e32 v49, v54, v65
	v_sub_f32_e32 v55, v50, v48
	v_add_f32_e32 v55, v49, v55
	v_mov_b32_e32 v49, v40
	v_fmac_f32_e32 v49, 0xbf737871, v52
	v_fmac_f32_e32 v40, 0x3f737871, v52
	;; [unrolled: 1-line block ×4, first 2 shown]
	v_add_f32_e32 v46, v46, v54
	v_add_f32_e32 v51, v41, v53
	;; [unrolled: 1-line block ×7, first 2 shown]
	v_fmac_f32_e32 v49, 0x3e9e377a, v55
	v_fmac_f32_e32 v40, 0x3e9e377a, v55
	v_fma_f32 v46, -0.5, v46, v41
	v_sub_f32_e32 v55, v65, v48
	v_sub_f32_e32 v54, v54, v50
	v_sub_f32_e32 v48, v53, v66
	v_sub_f32_e32 v50, v58, v57
	v_add_f32_e32 v50, v48, v50
	v_mov_b32_e32 v48, v46
	v_fmac_f32_e32 v48, 0xbf737871, v55
	v_fmac_f32_e32 v46, 0x3f737871, v55
	;; [unrolled: 1-line block ×6, first 2 shown]
	v_add_f32_e32 v50, v53, v58
	v_fmac_f32_e32 v41, -0.5, v50
	v_sub_f32_e32 v50, v66, v53
	v_sub_f32_e32 v53, v57, v58
	v_add_f32_e32 v53, v50, v53
	v_mov_b32_e32 v50, v41
	v_fmac_f32_e32 v50, 0x3f737871, v54
	v_fmac_f32_e32 v41, 0xbf737871, v54
	ds_write_b64 v154, v[42:43] offset:800
	v_mad_legacy_u16 v42, v90, s8, v91
	v_add_f32_e32 v52, v52, v58
	v_fmac_f32_e32 v50, 0xbf167918, v55
	v_fmac_f32_e32 v41, 0x3f167918, v55
	v_lshlrev_b32_e32 v161, 3, v42
	v_fmac_f32_e32 v50, 0x3e9e377a, v53
	v_fmac_f32_e32 v41, 0x3e9e377a, v53
	ds_write2_b64 v161, v[51:52], v[47:48] offset1:25
	ds_write2_b64 v161, v[49:50], v[40:41] offset0:50 offset1:75
	ds_write_b64 v161, v[45:46] offset:800
	v_add_co_u32_e32 v40, vcc, s9, v143
	v_addc_co_u32_e64 v41, s[12:13], 0, -1, vcc
	v_cmp_gt_u16_e32 vcc, s8, v143
	s_movk_i32 s8, 0x625
	v_mul_u32_u24_sdwa v42, v88, s8 dst_sel:DWORD dst_unused:UNUSED_PAD src0_sel:WORD_0 src1_sel:DWORD
	v_sub_u16_sdwa v43, v88, v42 dst_sel:DWORD dst_unused:UNUSED_PAD src0_sel:DWORD src1_sel:WORD_1
	v_lshrrev_b16_e32 v43, 1, v43
	v_cndmask_b32_e64 v46, v41, 0, vcc
	v_cndmask_b32_e32 v45, v40, v143, vcc
	v_add_u16_sdwa v42, v43, v42 dst_sel:DWORD dst_unused:UNUSED_PAD src0_sel:DWORD src1_sel:WORD_1
	v_lshlrev_b64 v[40:41], 4, v[45:46]
	v_lshrrev_b16_e32 v47, 6, v42
	v_mul_lo_u16_e32 v42, 0x7d, v47
	v_add_co_u32_e32 v40, vcc, s10, v40
	v_sub_u16_e32 v74, v88, v42
	v_addc_co_u32_e32 v41, vcc, v104, v41, vcc
	v_lshlrev_b16_e32 v42, 4, v74
	v_add_co_u32_e32 v42, vcc, s10, v42
	s_waitcnt lgkmcnt(0)
	s_barrier
	v_addc_co_u32_e32 v43, vcc, 0, v104, vcc
	global_load_dwordx4 v[60:63], v[40:41], off offset:960
	global_load_dwordx4 v[52:55], v[42:43], off offset:960
	v_mul_u32_u24_sdwa v40, v96, s8 dst_sel:DWORD dst_unused:UNUSED_PAD src0_sel:WORD_0 src1_sel:DWORD
	v_sub_u16_sdwa v41, v96, v40 dst_sel:DWORD dst_unused:UNUSED_PAD src0_sel:DWORD src1_sel:WORD_1
	s_movk_i32 s9, 0x2a3
	v_lshrrev_b16_e32 v41, 1, v41
	v_add_co_u32_e32 v100, vcc, s9, v143
	v_add_u16_sdwa v40, v41, v40 dst_sel:DWORD dst_unused:UNUSED_PAD src0_sel:DWORD src1_sel:WORD_1
	v_mul_u32_u24_sdwa v41, v100, s8 dst_sel:DWORD dst_unused:UNUSED_PAD src0_sel:WORD_0 src1_sel:DWORD
	v_sub_u16_sdwa v42, v100, v41 dst_sel:DWORD dst_unused:UNUSED_PAD src0_sel:DWORD src1_sel:WORD_1
	v_lshrrev_b16_e32 v42, 1, v42
	v_lshrrev_b16_e32 v75, 6, v40
	v_add_u16_sdwa v42, v42, v41 dst_sel:DWORD dst_unused:UNUSED_PAD src0_sel:DWORD src1_sel:WORD_1
	v_mul_lo_u16_e32 v40, 0x7d, v75
	v_sub_u16_e32 v89, v96, v40
	v_lshrrev_b16_e32 v90, 6, v42
	v_lshlrev_b16_e32 v40, 4, v89
	v_mul_lo_u16_e32 v42, 0x7d, v90
	v_add_co_u32_e32 v40, vcc, s10, v40
	v_sub_u16_e32 v91, v100, v42
	v_addc_co_u32_e32 v41, vcc, 0, v104, vcc
	v_lshlrev_b16_e32 v42, 4, v91
	v_add_co_u32_e32 v42, vcc, s10, v42
	s_movk_i32 s9, 0x384
	v_addc_co_u32_e32 v43, vcc, 0, v104, vcc
	v_add_co_u32_e32 v105, vcc, s9, v143
	global_load_dwordx4 v[76:79], v[40:41], off offset:960
	global_load_dwordx4 v[48:51], v[42:43], off offset:960
	v_mul_u32_u24_sdwa v40, v105, s8 dst_sel:DWORD dst_unused:UNUSED_PAD src0_sel:WORD_0 src1_sel:DWORD
	v_sub_u16_sdwa v41, v105, v40 dst_sel:DWORD dst_unused:UNUSED_PAD src0_sel:DWORD src1_sel:WORD_1
	v_lshrrev_b16_e32 v41, 1, v41
	v_add_u16_sdwa v40, v41, v40 dst_sel:DWORD dst_unused:UNUSED_PAD src0_sel:DWORD src1_sel:WORD_1
	v_lshrrev_b16_e32 v92, 6, v40
	v_mul_lo_u16_e32 v40, 0x7d, v92
	v_sub_u16_e32 v93, v105, v40
	v_lshlrev_b16_e32 v40, 4, v93
	v_add_co_u32_e32 v40, vcc, s10, v40
	v_addc_co_u32_e32 v41, vcc, 0, v104, vcc
	global_load_dwordx4 v[68:71], v[40:41], off offset:960
	ds_read2_b64 v[40:43], v144 offset0:10 offset1:235
	ds_read2_b64 v[56:59], v148 offset0:6 offset1:231
	s_movk_i32 s8, 0x7c
	v_cmp_lt_u16_e32 vcc, s8, v143
	s_movk_i32 s8, 0x177
	v_mad_legacy_u16 v47, v47, s8, v74
	s_movk_i32 s9, 0xff6a
	v_lshlrev_b32_e32 v96, 4, v96
	s_waitcnt vmcnt(4) lgkmcnt(1)
	v_mul_f32_e32 v46, v41, v63
	v_fma_f32 v64, v40, v62, -v46
	v_mul_f32_e32 v46, v40, v63
	s_waitcnt vmcnt(3)
	v_mul_f32_e32 v40, v43, v55
	v_fma_f32 v94, v42, v54, -v40
	v_mul_f32_e32 v95, v42, v55
	s_waitcnt lgkmcnt(0)
	v_mul_f32_e32 v40, v57, v53
	v_fmac_f32_e32 v46, v41, v62
	v_fmac_f32_e32 v95, v43, v54
	v_fma_f32 v97, v56, v52, -v40
	ds_read2_b64 v[40:43], v146 offset0:12 offset1:237
	v_mul_f32_e32 v98, v56, v53
	v_fmac_f32_e32 v98, v57, v52
	s_waitcnt vmcnt(2)
	v_mul_f32_e32 v56, v59, v77
	v_fma_f32 v99, v58, v76, -v56
	v_mul_f32_e32 v101, v58, v77
	s_waitcnt lgkmcnt(0)
	v_mul_f32_e32 v56, v41, v79
	v_fmac_f32_e32 v101, v59, v76
	v_fma_f32 v102, v40, v78, -v56
	ds_read2_b64 v[56:59], v147 offset0:8 offset1:233
	v_mul_f32_e32 v103, v40, v79
	s_waitcnt vmcnt(1)
	v_mul_f32_e32 v40, v43, v51
	v_fma_f32 v106, v42, v50, -v40
	v_mul_f32_e32 v107, v42, v51
	s_waitcnt lgkmcnt(0)
	v_mul_f32_e32 v40, v57, v49
	v_fma_f32 v162, v56, v48, -v40
	v_fmac_f32_e32 v103, v41, v78
	s_waitcnt vmcnt(0)
	v_mul_f32_e32 v40, v59, v69
	v_fmac_f32_e32 v107, v43, v50
	v_fma_f32 v168, v58, v68, -v40
	ds_read2_b64 v[40:43], v145 offset0:4 offset1:229
	v_mul_f32_e32 v163, v56, v49
	v_mov_b32_e32 v56, 0x177
	v_mul_f32_e32 v169, v58, v69
	v_cndmask_b32_e32 v56, 0, v56, vcc
	v_fmac_f32_e32 v163, v57, v48
	v_fmac_f32_e32 v169, v59, v68
	v_add_lshl_u32 v158, v45, v56, 3
	ds_read2_b64 v[56:59], v141 offset1:225
	s_waitcnt lgkmcnt(1)
	v_mul_f32_e32 v45, v43, v61
	v_fma_f32 v65, v42, v60, -v45
	v_mul_f32_e32 v45, v42, v61
	v_fmac_f32_e32 v45, v43, v60
	s_waitcnt lgkmcnt(0)
	v_add_f32_e32 v43, v57, v45
	v_add_f32_e32 v43, v43, v46
	v_sub_f32_e32 v156, v45, v46
	v_add_f32_e32 v46, v45, v46
	v_add_f32_e32 v45, v65, v64
	v_fma_f32 v45, -0.5, v45, v56
	v_fma_f32 v46, -0.5, v46, v57
	v_add_f32_e32 v42, v56, v65
	v_sub_f32_e32 v159, v65, v64
	v_mov_b32_e32 v56, v45
	v_mov_b32_e32 v57, v46
	v_add_f32_e32 v42, v42, v64
	v_fmac_f32_e32 v56, 0x3f5db3d7, v156
	v_fmac_f32_e32 v57, 0xbf5db3d7, v159
	;; [unrolled: 1-line block ×4, first 2 shown]
	ds_read_b64 v[72:73], v141 offset:25200
	ds_read2_b64 v[64:67], v149 offset0:2 offset1:227
	s_waitcnt lgkmcnt(0)
	s_barrier
	ds_write2_b64 v158, v[42:43], v[56:57] offset1:125
	ds_write_b64 v158, v[45:46] offset:2000
	v_add_f32_e32 v43, v97, v94
	v_add_f32_e32 v45, v98, v95
	;; [unrolled: 1-line block ×3, first 2 shown]
	v_fma_f32 v58, -0.5, v43, v58
	v_add_f32_e32 v43, v59, v98
	v_fmac_f32_e32 v59, -0.5, v45
	v_sub_f32_e32 v56, v98, v95
	v_sub_f32_e32 v57, v97, v94
	v_mov_b32_e32 v45, v58
	v_mov_b32_e32 v46, v59
	v_add_f32_e32 v42, v42, v94
	v_add_f32_e32 v43, v43, v95
	v_fmac_f32_e32 v45, 0x3f5db3d7, v56
	v_fmac_f32_e32 v46, 0xbf5db3d7, v57
	v_lshlrev_b32_e32 v156, 3, v47
	ds_write2_b64 v156, v[42:43], v[45:46] offset1:125
	v_add_f32_e32 v46, v101, v103
	v_add_f32_e32 v45, v99, v102
	v_fmac_f32_e32 v58, 0xbf5db3d7, v56
	v_fmac_f32_e32 v59, 0x3f5db3d7, v57
	v_fma_f32 v45, -0.5, v45, v64
	v_fma_f32 v46, -0.5, v46, v65
	ds_write_b64 v156, v[58:59] offset:2000
	v_add_f32_e32 v42, v64, v99
	v_add_f32_e32 v43, v65, v101
	v_sub_f32_e32 v47, v101, v103
	v_sub_f32_e32 v58, v99, v102
	v_mad_legacy_u16 v59, v75, s8, v89
	v_mov_b32_e32 v56, v45
	v_mov_b32_e32 v57, v46
	v_add_f32_e32 v42, v42, v102
	v_add_f32_e32 v43, v43, v103
	v_fmac_f32_e32 v56, 0x3f5db3d7, v47
	v_fmac_f32_e32 v57, 0xbf5db3d7, v58
	v_lshlrev_b32_e32 v159, 3, v59
	v_fmac_f32_e32 v45, 0xbf5db3d7, v47
	v_fmac_f32_e32 v46, 0x3f5db3d7, v58
	ds_write2_b64 v159, v[42:43], v[56:57] offset1:125
	ds_write_b64 v159, v[45:46] offset:2000
	v_add_f32_e32 v43, v162, v106
	v_add_f32_e32 v45, v163, v107
	v_add_f32_e32 v42, v66, v162
	v_fma_f32 v66, -0.5, v43, v66
	v_add_f32_e32 v43, v67, v163
	v_fmac_f32_e32 v67, -0.5, v45
	v_sub_f32_e32 v47, v163, v107
	v_sub_f32_e32 v56, v162, v106
	v_mad_legacy_u16 v57, v90, s8, v91
	v_mov_b32_e32 v45, v66
	v_mov_b32_e32 v46, v67
	v_add_f32_e32 v42, v42, v106
	v_add_f32_e32 v43, v43, v107
	v_fmac_f32_e32 v45, 0x3f5db3d7, v47
	v_fmac_f32_e32 v46, 0xbf5db3d7, v56
	v_lshlrev_b32_e32 v162, 3, v57
	ds_write2_b64 v162, v[42:43], v[45:46] offset1:125
	v_mul_f32_e32 v42, v73, v71
	v_fma_f32 v45, v72, v70, -v42
	v_mul_f32_e32 v46, v72, v71
	v_add_f32_e32 v43, v168, v45
	v_fmac_f32_e32 v46, v73, v70
	v_add_f32_e32 v42, v40, v168
	v_fma_f32 v40, -0.5, v43, v40
	v_add_f32_e32 v43, v41, v169
	v_fmac_f32_e32 v66, 0xbf5db3d7, v47
	v_add_f32_e32 v43, v43, v46
	v_sub_f32_e32 v47, v169, v46
	v_add_f32_e32 v46, v169, v46
	v_fmac_f32_e32 v67, 0x3f5db3d7, v56
	v_fmac_f32_e32 v41, -0.5, v46
	v_sub_f32_e32 v56, v168, v45
	v_mad_legacy_u16 v57, v92, s8, v93
	v_add_f32_e32 v42, v42, v45
	v_mov_b32_e32 v45, v40
	v_mov_b32_e32 v46, v41
	v_lshlrev_b32_e32 v163, 3, v57
	v_fmac_f32_e32 v40, 0xbf5db3d7, v47
	v_fmac_f32_e32 v41, 0x3f5db3d7, v56
	ds_write_b64 v162, v[66:67] offset:2000
	ds_write_b64 v163, v[40:41] offset:2000
	v_add_co_u32_e32 v40, vcc, s9, v143
	v_addc_co_u32_e64 v41, s[12:13], 0, -1, vcc
	v_cmp_gt_u16_e32 vcc, s14, v143
	v_cndmask_b32_e32 v98, v41, v44, vcc
	v_cndmask_b32_e32 v97, v40, v88, vcc
	v_lshlrev_b64 v[40:41], 4, v[97:98]
	s_movk_i32 s9, 0x5d87
	v_add_co_u32_e32 v40, vcc, s10, v40
	v_fmac_f32_e32 v45, 0x3f5db3d7, v47
	v_fmac_f32_e32 v46, 0xbf5db3d7, v56
	v_addc_co_u32_e32 v41, vcc, v104, v41, vcc
	v_lshlrev_b32_e32 v56, 4, v143
	v_mul_u32_u24_sdwa v57, v100, s9 dst_sel:DWORD dst_unused:UNUSED_PAD src0_sel:WORD_0 src1_sel:DWORD
	ds_write2_b64 v163, v[42:43], v[45:46] offset1:125
	s_waitcnt lgkmcnt(0)
	s_barrier
	global_load_dwordx4 v[40:43], v[40:41], off offset:2960
	s_nop 0
	global_load_dwordx4 v[44:47], v56, s[10:11] offset:2960
	v_sub_u16_sdwa v58, v100, v57 dst_sel:DWORD dst_unused:UNUSED_PAD src0_sel:DWORD src1_sel:WORD_1
	v_add_co_u32_e32 v95, vcc, s10, v56
	v_lshrrev_b16_e32 v58, 1, v58
	v_addc_co_u32_e32 v103, vcc, 0, v104, vcc
	v_add_u16_sdwa v58, v58, v57 dst_sel:DWORD dst_unused:UNUSED_PAD src0_sel:DWORD src1_sel:WORD_1
	v_add_co_u32_e32 v56, vcc, s7, v95
	v_addc_co_u32_e32 v57, vcc, 0, v103, vcc
	v_lshrrev_b16_e32 v172, 8, v58
	v_mul_u32_u24_sdwa v72, v105, s9 dst_sel:DWORD dst_unused:UNUSED_PAD src0_sel:WORD_0 src1_sel:DWORD
	v_mul_lo_u16_e32 v58, 0x177, v172
	global_load_dwordx4 v[64:67], v[56:57], off offset:64
	v_sub_u16_sdwa v73, v105, v72 dst_sel:DWORD dst_unused:UNUSED_PAD src0_sel:DWORD src1_sel:WORD_1
	v_sub_u16_e32 v173, v100, v58
	v_lshrrev_b16_e32 v73, 1, v73
	v_lshlrev_b16_e32 v58, 4, v173
	v_add_u16_sdwa v72, v73, v72 dst_sel:DWORD dst_unused:UNUSED_PAD src0_sel:DWORD src1_sel:WORD_1
	v_add_co_u32_e32 v56, vcc, s10, v58
	v_mul_lo_u16_sdwa v72, v72, s8 dst_sel:DWORD dst_unused:UNUSED_PAD src0_sel:BYTE_1 src1_sel:DWORD
	v_addc_co_u32_e32 v57, vcc, 0, v104, vcc
	v_sub_u16_e32 v174, v105, v72
	global_load_dwordx4 v[56:59], v[56:57], off offset:2960
	v_lshlrev_b16_e32 v72, 4, v174
	v_add_co_u32_e32 v72, vcc, s10, v72
	v_addc_co_u32_e32 v73, vcc, 0, v104, vcc
	global_load_dwordx4 v[72:75], v[72:73], off offset:2960
	ds_read2_b64 v[89:92], v144 offset0:10 offset1:235
	ds_read2_b64 v[168:171], v148 offset0:6 offset1:231
	s_movk_i32 s7, 0x95
	v_cmp_lt_u16_e32 vcc, s7, v143
	s_movk_i32 s7, 0x465
	v_lshlrev_b32_e32 v88, 4, v88
	v_lshlrev_b32_e32 v100, 4, v100
	;; [unrolled: 1-line block ×3, first 2 shown]
	s_waitcnt vmcnt(4) lgkmcnt(1)
	v_mul_f32_e32 v176, v91, v43
	s_waitcnt vmcnt(3)
	v_mul_f32_e32 v93, v90, v47
	v_fma_f32 v106, v89, v46, -v93
	v_mul_f32_e32 v107, v89, v47
	v_mul_f32_e32 v89, v92, v43
	v_fma_f32 v175, v91, v42, -v89
	s_waitcnt lgkmcnt(0)
	v_mul_f32_e32 v89, v169, v41
	v_fmac_f32_e32 v107, v90, v46
	v_fmac_f32_e32 v176, v92, v42
	v_fma_f32 v177, v168, v40, -v89
	ds_read2_b64 v[89:92], v146 offset0:12 offset1:237
	v_mul_f32_e32 v178, v168, v41
	v_fmac_f32_e32 v178, v169, v40
	s_waitcnt vmcnt(2)
	v_mul_f32_e32 v93, v171, v65
	v_mul_f32_e32 v180, v170, v65
	v_fma_f32 v179, v170, v64, -v93
	v_fmac_f32_e32 v180, v171, v64
	ds_read2_b64 v[168:171], v147 offset0:8 offset1:233
	s_waitcnt lgkmcnt(1)
	v_mul_f32_e32 v93, v90, v67
	v_fma_f32 v181, v89, v66, -v93
	v_mul_f32_e32 v182, v89, v67
	v_fmac_f32_e32 v182, v90, v66
	s_waitcnt vmcnt(1)
	v_mul_f32_e32 v89, v92, v59
	v_fma_f32 v183, v91, v58, -v89
	v_mul_f32_e32 v184, v91, v59
	s_waitcnt lgkmcnt(0)
	v_mul_f32_e32 v89, v169, v57
	v_fmac_f32_e32 v184, v92, v58
	v_fma_f32 v185, v168, v56, -v89
	ds_read2_b64 v[89:92], v145 offset0:4 offset1:229
	v_mul_f32_e32 v186, v168, v57
	s_waitcnt vmcnt(0)
	v_mul_f32_e32 v93, v171, v73
	v_mul_f32_e32 v188, v170, v73
	v_fmac_f32_e32 v186, v169, v56
	v_fma_f32 v187, v170, v72, -v93
	v_fmac_f32_e32 v188, v171, v72
	ds_read2_b64 v[168:171], v141 offset1:225
	s_waitcnt lgkmcnt(1)
	v_mul_f32_e32 v93, v92, v45
	v_fma_f32 v189, v91, v44, -v93
	v_mul_f32_e32 v190, v91, v45
	v_fmac_f32_e32 v190, v92, v44
	s_waitcnt lgkmcnt(0)
	v_add_f32_e32 v91, v168, v189
	v_add_f32_e32 v98, v91, v106
	;; [unrolled: 1-line block ×4, first 2 shown]
	ds_read_b64 v[101:102], v141 offset:25200
	ds_read2_b64 v[91:94], v149 offset0:2 offset1:227
	s_waitcnt lgkmcnt(0)
	s_barrier
	ds_write_b64 v141, v[98:99]
	v_add_f32_e32 v99, v190, v107
	v_add_f32_e32 v98, v189, v106
	v_sub_f32_e32 v191, v190, v107
	v_fma_f32 v98, -0.5, v98, v168
	v_fma_f32 v99, -0.5, v99, v169
	v_sub_f32_e32 v168, v189, v106
	v_mov_b32_e32 v106, v98
	v_mov_b32_e32 v107, v99
	v_fmac_f32_e32 v98, 0xbf5db3d7, v191
	v_fmac_f32_e32 v99, 0x3f5db3d7, v168
	ds_write_b64 v141, v[98:99] offset:6000
	v_mov_b32_e32 v98, 0x465
	v_cndmask_b32_e32 v98, 0, v98, vcc
	v_fmac_f32_e32 v107, 0xbf5db3d7, v168
	v_add_lshl_u32 v168, v97, v98, 3
	v_add_f32_e32 v97, v177, v175
	v_fmac_f32_e32 v106, 0x3f5db3d7, v191
	v_add_f32_e32 v99, v170, v177
	v_fma_f32 v170, -0.5, v97, v170
	v_add_f32_e32 v97, v178, v176
	ds_write_b64 v141, v[106:107] offset:3000
	v_add_f32_e32 v107, v171, v178
	v_fmac_f32_e32 v171, -0.5, v97
	v_sub_f32_e32 v169, v178, v176
	v_mov_b32_e32 v97, v170
	v_sub_f32_e32 v177, v177, v175
	v_mov_b32_e32 v98, v171
	v_fmac_f32_e32 v97, 0x3f5db3d7, v169
	v_fmac_f32_e32 v98, 0xbf5db3d7, v177
	ds_write_b64 v168, v[97:98] offset:3000
	v_add_f32_e32 v97, v91, v179
	v_add_f32_e32 v98, v92, v180
	v_fmac_f32_e32 v170, 0xbf5db3d7, v169
	v_fmac_f32_e32 v171, 0x3f5db3d7, v177
	v_add_f32_e32 v106, v99, v175
	v_add_f32_e32 v107, v107, v176
	v_add_f32_e32 v97, v97, v181
	v_add_f32_e32 v98, v98, v182
	ds_write_b64 v168, v[170:171] offset:6000
	ds_write_b64 v168, v[106:107]
	ds_write_b64 v141, v[97:98] offset:9600
	v_add_f32_e32 v97, v180, v182
	v_add_f32_e32 v98, v179, v181
	v_sub_f32_e32 v99, v180, v182
	v_fma_f32 v91, -0.5, v98, v91
	v_fma_f32 v92, -0.5, v97, v92
	v_sub_f32_e32 v106, v179, v181
	v_mov_b32_e32 v97, v91
	v_mov_b32_e32 v98, v92
	v_fmac_f32_e32 v91, 0xbf5db3d7, v99
	v_fmac_f32_e32 v92, 0x3f5db3d7, v106
	v_fmac_f32_e32 v97, 0x3f5db3d7, v99
	v_fmac_f32_e32 v98, 0xbf5db3d7, v106
	ds_write_b64 v141, v[91:92] offset:15600
	v_add_f32_e32 v91, v185, v183
	ds_write_b64 v141, v[97:98] offset:12600
	v_add_f32_e32 v97, v93, v185
	v_fma_f32 v93, -0.5, v91, v93
	v_add_f32_e32 v91, v186, v184
	v_add_f32_e32 v98, v94, v186
	v_fmac_f32_e32 v94, -0.5, v91
	v_mad_legacy_u16 v99, v172, s7, v173
	v_sub_f32_e32 v106, v186, v184
	v_sub_f32_e32 v107, v185, v183
	v_mov_b32_e32 v91, v93
	v_fmac_f32_e32 v93, 0xbf5db3d7, v106
	v_mov_b32_e32 v92, v94
	v_fmac_f32_e32 v94, 0x3f5db3d7, v107
	v_lshlrev_b32_e32 v169, 3, v99
	ds_write_b64 v169, v[93:94] offset:6000
	v_mul_f32_e32 v93, v102, v75
	v_fma_f32 v99, v101, v74, -v93
	v_mul_f32_e32 v101, v101, v75
	v_fmac_f32_e32 v91, 0x3f5db3d7, v106
	v_fmac_f32_e32 v92, 0xbf5db3d7, v107
	;; [unrolled: 1-line block ×3, first 2 shown]
	v_add_f32_e32 v93, v97, v183
	v_add_f32_e32 v94, v98, v184
	ds_write_b64 v169, v[91:92] offset:3000
	v_add_f32_e32 v91, v187, v99
	ds_write_b64 v169, v[93:94]
	v_add_f32_e32 v93, v89, v187
	v_fma_f32 v89, -0.5, v91, v89
	v_add_f32_e32 v91, v188, v101
	v_add_f32_e32 v94, v90, v188
	v_fmac_f32_e32 v90, -0.5, v91
	v_sub_f32_e32 v97, v188, v101
	v_sub_f32_e32 v98, v187, v99
	v_mov_b32_e32 v91, v89
	v_fmac_f32_e32 v89, 0xbf5db3d7, v97
	v_mov_b32_e32 v92, v90
	v_fmac_f32_e32 v90, 0x3f5db3d7, v98
	v_lshlrev_b32_e32 v170, 3, v174
	ds_write_b64 v170, v[89:90] offset:24000
	v_add_f32_e32 v89, v93, v99
	v_add_f32_e32 v90, v94, v101
	ds_write_b64 v170, v[89:90] offset:18000
	v_add_co_u32_e32 v89, vcc, s6, v95
	v_fmac_f32_e32 v91, 0x3f5db3d7, v97
	v_fmac_f32_e32 v92, 0xbf5db3d7, v98
	v_addc_co_u32_e32 v90, vcc, 0, v103, vcc
	ds_write_b64 v170, v[91:92] offset:21000
	s_waitcnt lgkmcnt(0)
	s_barrier
	global_load_dwordx4 v[92:95], v[89:90], off offset:768
	v_add_co_u32_e32 v88, vcc, s10, v88
	v_addc_co_u32_e32 v89, vcc, 0, v104, vcc
	v_add_co_u32_e32 v88, vcc, s6, v88
	v_addc_co_u32_e32 v89, vcc, 0, v89, vcc
	v_add_co_u32_e32 v96, vcc, s10, v96
	global_load_dwordx4 v[88:91], v[88:89], off offset:768
	v_addc_co_u32_e32 v97, vcc, 0, v104, vcc
	v_add_co_u32_e32 v96, vcc, s6, v96
	v_addc_co_u32_e32 v97, vcc, 0, v97, vcc
	global_load_dwordx4 v[96:99], v[96:97], off offset:768
	ds_read2_b64 v[171:174], v144 offset0:10 offset1:235
	v_add_co_u32_e32 v100, vcc, s10, v100
	ds_read2_b64 v[175:178], v148 offset0:6 offset1:231
	s_waitcnt vmcnt(2) lgkmcnt(1)
	v_mul_f32_e32 v101, v172, v95
	v_fma_f32 v180, v171, v94, -v101
	v_addc_co_u32_e32 v101, vcc, 0, v104, vcc
	v_add_co_u32_e32 v100, vcc, s6, v100
	v_addc_co_u32_e32 v101, vcc, 0, v101, vcc
	v_add_co_u32_e32 v105, vcc, s10, v105
	v_addc_co_u32_e32 v106, vcc, 0, v104, vcc
	global_load_dwordx4 v[100:103], v[100:101], off offset:768
	v_add_co_u32_e32 v104, vcc, s6, v105
	v_addc_co_u32_e32 v105, vcc, 0, v106, vcc
	global_load_dwordx4 v[104:107], v[104:105], off offset:768
	v_mul_f32_e32 v171, v171, v95
	v_fmac_f32_e32 v171, v172, v94
	s_waitcnt vmcnt(3)
	v_mul_f32_e32 v172, v174, v91
	v_fma_f32 v194, v173, v90, -v172
	v_mul_f32_e32 v195, v173, v91
	s_waitcnt lgkmcnt(0)
	v_mul_f32_e32 v172, v176, v89
	v_fmac_f32_e32 v195, v174, v90
	v_fma_f32 v196, v175, v88, -v172
	v_mul_f32_e32 v197, v175, v89
	ds_read2_b64 v[172:175], v145 offset0:4 offset1:229
	v_fmac_f32_e32 v197, v176, v88
	s_waitcnt vmcnt(2)
	v_mul_f32_e32 v176, v178, v97
	v_mul_f32_e32 v199, v177, v97
	v_fma_f32 v198, v177, v96, -v176
	v_fmac_f32_e32 v199, v178, v96
	ds_read2_b64 v[176:179], v141 offset1:225
	s_waitcnt lgkmcnt(1)
	v_mul_f32_e32 v181, v175, v93
	v_fma_f32 v181, v174, v92, -v181
	v_mul_f32_e32 v174, v174, v93
	v_fmac_f32_e32 v174, v175, v92
	s_waitcnt lgkmcnt(0)
	v_add_f32_e32 v175, v176, v181
	v_add_f32_e32 v188, v175, v180
	;; [unrolled: 1-line block ×4, first 2 shown]
	v_sub_f32_e32 v200, v174, v171
	v_add_f32_e32 v171, v174, v171
	v_add_f32_e32 v174, v181, v180
	v_fma_f32 v191, -0.5, v171, v177
	v_fma_f32 v190, -0.5, v174, v176
	v_sub_f32_e32 v171, v181, v180
	v_mov_b32_e32 v193, v191
	v_mov_b32_e32 v192, v190
	v_fmac_f32_e32 v193, 0xbf5db3d7, v171
	ds_read2_b64 v[174:177], v149 offset0:2 offset1:227
	ds_read2_b64 v[180:183], v146 offset0:12 offset1:237
	;; [unrolled: 1-line block ×3, first 2 shown]
	v_fmac_f32_e32 v190, 0xbf5db3d7, v200
	v_fmac_f32_e32 v191, 0x3f5db3d7, v171
	v_add_f32_e32 v171, v178, v196
	ds_write_b64 v141, v[190:191] offset:18000
	v_add_f32_e32 v190, v171, v194
	v_add_f32_e32 v171, v179, v197
	;; [unrolled: 1-line block ×4, first 2 shown]
	v_fma_f32 v178, -0.5, v171, v178
	v_add_f32_e32 v171, v197, v195
	v_fmac_f32_e32 v179, -0.5, v171
	s_waitcnt lgkmcnt(2)
	v_mul_f32_e32 v171, v181, v99
	v_fmac_f32_e32 v192, 0x3f5db3d7, v200
	v_sub_f32_e32 v200, v197, v195
	v_sub_f32_e32 v194, v196, v194
	v_fma_f32 v195, v180, v98, -v171
	v_mul_f32_e32 v196, v180, v99
	v_fmac_f32_e32 v196, v181, v98
	v_add_f32_e32 v171, v198, v195
	v_fma_f32 v180, -0.5, v171, v174
	v_add_f32_e32 v171, v199, v196
	v_fma_f32 v181, -0.5, v171, v175
	v_sub_f32_e32 v197, v199, v196
	v_sub_f32_e32 v201, v198, v195
	ds_write_b64 v141, v[192:193] offset:9000
	ds_read_b64 v[192:193], v141 offset:25200
	ds_write2_b64 v141, v[188:189], v[190:191] offset1:225
	v_mov_b32_e32 v188, v178
	v_fmac_f32_e32 v178, 0xbf5db3d7, v200
	v_mov_b32_e32 v189, v179
	v_fmac_f32_e32 v179, 0x3f5db3d7, v194
	;; [unrolled: 2-line block ×4, first 2 shown]
	v_add_u32_e32 v171, 0x4d00, v141
	ds_write2_b64 v171, v[178:179], v[180:181] offset0:11 offset1:236
	v_add_f32_e32 v174, v174, v198
	v_add_f32_e32 v175, v175, v199
	v_fmac_f32_e32 v188, 0x3f5db3d7, v200
	s_waitcnt vmcnt(1)
	v_mul_f32_e32 v178, v183, v103
	v_mul_f32_e32 v181, v182, v103
	v_fma_f32 v180, v182, v102, -v178
	v_fmac_f32_e32 v181, v183, v102
	s_waitcnt lgkmcnt(5)
	v_mul_f32_e32 v178, v185, v101
	v_mul_f32_e32 v183, v184, v101
	v_fma_f32 v182, v184, v100, -v178
	v_fmac_f32_e32 v183, v185, v100
	s_waitcnt vmcnt(0)
	v_mul_f32_e32 v178, v187, v105
	v_fma_f32 v184, v186, v104, -v178
	v_add_f32_e32 v178, v176, v182
	v_add_f32_e32 v179, v177, v183
	v_fmac_f32_e32 v189, 0xbf5db3d7, v194
	v_fmac_f32_e32 v190, 0x3f5db3d7, v197
	;; [unrolled: 1-line block ×3, first 2 shown]
	v_add_f32_e32 v174, v174, v195
	v_add_f32_e32 v175, v175, v196
	;; [unrolled: 1-line block ×4, first 2 shown]
	ds_write2_b64 v148, v[188:189], v[190:191] offset0:6 offset1:231
	ds_write2_b64 v149, v[174:175], v[178:179] offset0:2 offset1:227
	v_add_f32_e32 v174, v182, v180
	v_fma_f32 v176, -0.5, v174, v176
	v_add_f32_e32 v174, v183, v181
	v_sub_f32_e32 v178, v183, v181
	v_fmac_f32_e32 v177, -0.5, v174
	v_sub_f32_e32 v179, v182, v180
	v_mul_f32_e32 v185, v186, v105
	v_mov_b32_e32 v174, v176
	v_fmac_f32_e32 v176, 0xbf5db3d7, v178
	v_mov_b32_e32 v175, v177
	v_fmac_f32_e32 v177, 0x3f5db3d7, v179
	v_fmac_f32_e32 v185, v187, v104
	ds_write_b64 v141, v[176:177] offset:23400
	s_waitcnt lgkmcnt(5)
	v_mul_f32_e32 v176, v193, v107
	v_mul_f32_e32 v181, v192, v107
	v_fma_f32 v180, v192, v106, -v176
	v_fmac_f32_e32 v181, v193, v106
	v_add_f32_e32 v176, v172, v184
	v_add_f32_e32 v177, v173, v185
	;; [unrolled: 1-line block ×4, first 2 shown]
	ds_write_b64 v141, v[176:177] offset:7200
	v_add_f32_e32 v176, v184, v180
	v_fma_f32 v172, -0.5, v176, v172
	v_add_f32_e32 v176, v185, v181
	v_fmac_f32_e32 v173, -0.5, v176
	v_fmac_f32_e32 v174, 0x3f5db3d7, v178
	v_fmac_f32_e32 v175, 0xbf5db3d7, v179
	v_sub_f32_e32 v178, v185, v181
	v_sub_f32_e32 v179, v184, v180
	v_mov_b32_e32 v176, v172
	v_mov_b32_e32 v177, v173
	v_fmac_f32_e32 v176, 0x3f5db3d7, v178
	v_fmac_f32_e32 v177, 0xbf5db3d7, v179
	;; [unrolled: 1-line block ×4, first 2 shown]
	ds_write2_b64 v147, v[174:175], v[176:177] offset0:8 offset1:233
	ds_write_b64 v141, v[172:173] offset:25200
	s_waitcnt lgkmcnt(0)
	s_barrier
	global_load_dwordx2 v[139:140], v[139:140], off offset:2424
	s_movk_i32 s6, 0x6978
	v_add_co_u32_e32 v172, vcc, s6, v151
	v_addc_co_u32_e32 v173, vcc, 0, v152, vcc
	global_load_dwordx2 v[180:181], v[172:173], off offset:1800
	s_mov_b32 s6, 0x9000
	v_add_co_u32_e32 v174, vcc, s6, v151
	v_addc_co_u32_e32 v175, vcc, 0, v152, vcc
	global_load_dwordx2 v[182:183], v[174:175], off offset:936
	global_load_dwordx2 v[184:185], v[174:175], off offset:2736
	s_mov_b32 s6, 0xb000
	v_add_co_u32_e32 v174, vcc, s6, v151
	v_addc_co_u32_e32 v175, vcc, 0, v152, vcc
	global_load_dwordx2 v[186:187], v[174:175], off offset:3544
	s_mov_b32 s6, 0xc000
	v_add_co_u32_e32 v176, vcc, s6, v151
	v_addc_co_u32_e32 v177, vcc, 0, v152, vcc
	global_load_dwordx2 v[188:189], v[176:177], off offset:1248
	s_movk_i32 s6, 0x7000
	v_add_co_u32_e32 v178, vcc, s6, v151
	v_addc_co_u32_e32 v179, vcc, 0, v152, vcc
	global_load_dwordx2 v[190:191], v[178:179], off offset:3728
	global_load_dwordx2 v[192:193], v[172:173], off offset:3600
	s_mov_b32 s6, 0x8000
	v_add_co_u32_e32 v172, vcc, s6, v151
	v_addc_co_u32_e32 v173, vcc, 0, v152, vcc
	global_load_dwordx2 v[194:195], v[172:173], off offset:1432
	global_load_dwordx2 v[196:197], v[176:177], off offset:3048
	;; [unrolled: 1-line block ×3, first 2 shown]
	s_mov_b32 s6, 0xa000
	v_add_co_u32_e32 v151, vcc, s6, v151
	v_addc_co_u32_e32 v152, vcc, 0, v152, vcc
	global_load_dwordx2 v[200:201], v[151:152], off offset:2240
	global_load_dwordx2 v[202:203], v[151:152], off offset:440
	s_nop 0
	global_load_dwordx2 v[151:152], v[151:152], off offset:4040
	s_nop 0
	global_load_dwordx2 v[204:205], v[174:175], off offset:1744
	ds_read2_b64 v[172:175], v141 offset1:225
	s_waitcnt vmcnt(14) lgkmcnt(0)
	v_mul_f32_e32 v176, v173, v140
	v_mul_f32_e32 v177, v172, v140
	v_fma_f32 v176, v172, v139, -v176
	v_fmac_f32_e32 v177, v173, v139
	ds_write_b64 v141, v[176:177]
	ds_read2_b64 v[176:179], v148 offset0:6 offset1:231
	s_waitcnt vmcnt(13)
	v_mul_f32_e32 v139, v175, v181
	v_mul_f32_e32 v140, v174, v181
	v_fma_f32 v139, v174, v180, -v139
	v_fmac_f32_e32 v140, v175, v180
	s_waitcnt vmcnt(12) lgkmcnt(0)
	v_mul_f32_e32 v172, v177, v183
	v_fma_f32 v180, v176, v182, -v172
	ds_read2_b64 v[172:175], v146 offset0:12 offset1:237
	v_mul_f32_e32 v181, v176, v183
	s_waitcnt vmcnt(11)
	v_mul_f32_e32 v176, v179, v185
	v_fmac_f32_e32 v181, v177, v182
	v_fma_f32 v182, v178, v184, -v176
	v_mul_f32_e32 v183, v178, v185
	s_waitcnt vmcnt(10) lgkmcnt(0)
	v_mul_f32_e32 v176, v173, v187
	v_fmac_f32_e32 v183, v179, v184
	v_fma_f32 v184, v172, v186, -v176
	ds_read2_b64 v[176:179], v149 offset0:2 offset1:227
	v_mul_f32_e32 v185, v172, v187
	s_waitcnt vmcnt(9)
	v_mul_f32_e32 v172, v175, v189
	v_fmac_f32_e32 v185, v173, v186
	v_fma_f32 v186, v174, v188, -v172
	v_mul_f32_e32 v187, v174, v189
	v_fmac_f32_e32 v187, v175, v188
	s_waitcnt vmcnt(8) lgkmcnt(0)
	v_mul_f32_e32 v172, v179, v191
	v_fma_f32 v188, v178, v190, -v172
	ds_read2_b64 v[172:175], v145 offset0:4 offset1:229
	v_mul_f32_e32 v189, v178, v191
	s_waitcnt vmcnt(7)
	v_mul_f32_e32 v178, v177, v193
	v_fmac_f32_e32 v189, v179, v190
	v_fma_f32 v190, v176, v192, -v178
	v_mul_f32_e32 v191, v176, v193
	s_waitcnt vmcnt(6) lgkmcnt(0)
	v_mul_f32_e32 v176, v173, v195
	v_fmac_f32_e32 v191, v177, v192
	v_fma_f32 v192, v172, v194, -v176
	ds_read2_b64 v[176:179], v147 offset0:8 offset1:233
	v_mul_f32_e32 v193, v172, v195
	s_waitcnt vmcnt(4)
	v_mul_f32_e32 v172, v175, v199
	v_fmac_f32_e32 v193, v173, v194
	v_fma_f32 v194, v174, v198, -v172
	v_mul_f32_e32 v195, v174, v199
	s_waitcnt vmcnt(3) lgkmcnt(0)
	v_mul_f32_e32 v172, v179, v201
	v_fmac_f32_e32 v195, v175, v198
	;; [unrolled: 11-line block ×3, first 2 shown]
	v_fma_f32 v176, v172, v151, -v176
	v_mul_f32_e32 v177, v172, v152
	v_add_u32_e32 v172, 0x1500, v141
	v_fmac_f32_e32 v177, v173, v151
	ds_write2_b64 v172, v[188:189], v[192:193] offset0:3 offset1:228
	v_add_u32_e32 v172, 0x3f00, v141
	ds_write2_b64 v172, v[198:199], v[176:177] offset0:9 offset1:234
	ds_read_b64 v[172:173], v141 offset:25200
	s_waitcnt vmcnt(0)
	v_mul_f32_e32 v151, v175, v205
	v_fma_f32 v151, v174, v204, -v151
	v_mul_f32_e32 v152, v174, v205
	v_add_u32_e32 v174, 0x700, v141
	ds_write2_b64 v174, v[139:140], v[190:191] offset0:1 offset1:226
	v_add_u32_e32 v139, 0x2300, v141
	ds_write2_b64 v139, v[194:195], v[180:181] offset0:5 offset1:230
	ds_write2_b64 v166, v[182:183], v[178:179] offset0:7 offset1:232
	s_waitcnt lgkmcnt(3)
	v_mul_f32_e32 v139, v173, v197
	v_mul_f32_e32 v140, v172, v197
	v_fma_f32 v139, v172, v196, -v139
	v_fmac_f32_e32 v140, v173, v196
	v_fmac_f32_e32 v152, v175, v204
	ds_write2_b64 v167, v[186:187], v[139:140] offset0:13 offset1:238
	ds_write2_b64 v171, v[151:152], v[184:185] offset0:11 offset1:236
	s_waitcnt lgkmcnt(0)
	s_barrier
	ds_read2_b64 v[172:175], v149 offset0:2 offset1:227
	ds_read2_b64 v[176:179], v148 offset0:6 offset1:231
	;; [unrolled: 1-line block ×4, first 2 shown]
	ds_read2_b64 v[188:191], v141 offset1:225
	ds_read_b64 v[200:201], v141 offset:25200
	ds_read2_b64 v[192:195], v145 offset0:4 offset1:229
	ds_read2_b64 v[196:199], v144 offset0:10 offset1:235
	s_waitcnt lgkmcnt(6)
	v_sub_f32_e32 v139, v174, v176
	s_waitcnt lgkmcnt(5)
	v_add_f32_e32 v151, v176, v182
	v_add_f32_e32 v152, v177, v183
	s_waitcnt lgkmcnt(4)
	v_sub_f32_e32 v140, v184, v182
	s_waitcnt lgkmcnt(3)
	v_fma_f32 v151, -0.5, v151, v188
	v_fma_f32 v152, -0.5, v152, v189
	v_sub_f32_e32 v166, v175, v177
	v_sub_f32_e32 v167, v185, v183
	v_add_f32_e32 v202, v139, v140
	v_add_f32_e32 v139, v188, v174
	;; [unrolled: 1-line block ×4, first 2 shown]
	v_sub_f32_e32 v204, v175, v185
	v_mov_b32_e32 v166, v151
	v_mov_b32_e32 v167, v152
	v_sub_f32_e32 v206, v174, v184
	v_add_f32_e32 v139, v139, v176
	v_add_f32_e32 v140, v140, v177
	v_fmac_f32_e32 v166, 0xbf737871, v204
	v_sub_f32_e32 v205, v177, v183
	v_fmac_f32_e32 v167, 0x3f737871, v206
	v_sub_f32_e32 v207, v176, v182
	v_add_f32_e32 v139, v139, v182
	v_add_f32_e32 v140, v140, v183
	v_fmac_f32_e32 v166, 0xbf167918, v205
	v_fmac_f32_e32 v167, 0x3f167918, v207
	v_add_f32_e32 v139, v139, v184
	v_add_f32_e32 v140, v140, v185
	v_fmac_f32_e32 v166, 0x3e9e377a, v202
	v_fmac_f32_e32 v167, 0x3e9e377a, v203
	s_waitcnt lgkmcnt(0)
	s_barrier
	ds_write2_b64 v165, v[139:140], v[166:167] offset1:1
	v_sub_f32_e32 v139, v176, v174
	v_sub_f32_e32 v140, v182, v184
	v_add_f32_e32 v140, v139, v140
	v_add_f32_e32 v139, v174, v184
	v_fma_f32 v139, -0.5, v139, v188
	v_mov_b32_e32 v166, v139
	v_fmac_f32_e32 v166, 0x3f737871, v205
	v_fmac_f32_e32 v139, 0xbf737871, v205
	;; [unrolled: 1-line block ×6, first 2 shown]
	v_add_f32_e32 v140, v175, v185
	v_fma_f32 v140, -0.5, v140, v189
	v_sub_f32_e32 v167, v177, v175
	v_sub_f32_e32 v174, v183, v185
	v_add_f32_e32 v174, v167, v174
	v_mov_b32_e32 v167, v140
	v_fmac_f32_e32 v167, 0xbf737871, v207
	v_fmac_f32_e32 v140, 0x3f737871, v207
	;; [unrolled: 1-line block ×10, first 2 shown]
	ds_write2_b64 v165, v[166:167], v[139:140] offset0:2 offset1:3
	v_fmac_f32_e32 v151, 0x3e9e377a, v202
	v_fmac_f32_e32 v152, 0x3e9e377a, v203
	v_add_f32_e32 v139, v178, v196
	v_add_f32_e32 v140, v192, v186
	ds_write_b64 v165, v[151:152] offset:32
	v_add_f32_e32 v165, v190, v192
	v_fma_f32 v139, -0.5, v139, v190
	v_fma_f32 v190, -0.5, v140, v190
	v_sub_f32_e32 v140, v178, v192
	v_sub_f32_e32 v151, v196, v186
	v_add_f32_e32 v140, v140, v151
	v_sub_f32_e32 v167, v179, v197
	v_mov_b32_e32 v151, v190
	v_fmac_f32_e32 v151, 0x3f737871, v167
	v_sub_f32_e32 v174, v193, v187
	v_fmac_f32_e32 v190, 0xbf737871, v167
	v_fmac_f32_e32 v151, 0xbf167918, v174
	v_fmac_f32_e32 v190, 0x3f167918, v174
	v_fmac_f32_e32 v151, 0x3e9e377a, v140
	v_fmac_f32_e32 v190, 0x3e9e377a, v140
	v_add_f32_e32 v140, v179, v197
	v_add_f32_e32 v152, v193, v187
	v_fma_f32 v140, -0.5, v140, v191
	v_add_f32_e32 v166, v191, v193
	v_fmac_f32_e32 v191, -0.5, v152
	v_sub_f32_e32 v152, v179, v193
	v_sub_f32_e32 v175, v197, v187
	v_add_f32_e32 v175, v152, v175
	v_mov_b32_e32 v152, v191
	v_sub_f32_e32 v176, v178, v196
	v_fmac_f32_e32 v152, 0xbf737871, v176
	v_sub_f32_e32 v177, v192, v186
	v_fmac_f32_e32 v191, 0x3f737871, v176
	v_fmac_f32_e32 v152, 0x3f167918, v177
	;; [unrolled: 1-line block ×5, first 2 shown]
	ds_write2_b64 v160, v[151:152], v[190:191] offset0:2 offset1:3
	v_add_f32_e32 v151, v165, v178
	v_add_f32_e32 v152, v166, v179
	v_sub_f32_e32 v165, v192, v178
	v_sub_f32_e32 v166, v193, v179
	;; [unrolled: 1-line block ×4, first 2 shown]
	v_add_f32_e32 v175, v165, v175
	v_add_f32_e32 v178, v166, v178
	v_mov_b32_e32 v165, v139
	v_mov_b32_e32 v166, v140
	v_fmac_f32_e32 v165, 0xbf737871, v174
	v_fmac_f32_e32 v166, 0x3f737871, v177
	v_add_f32_e32 v151, v151, v196
	v_add_f32_e32 v152, v152, v197
	v_fmac_f32_e32 v165, 0xbf167918, v167
	v_fmac_f32_e32 v166, 0x3f167918, v176
	;; [unrolled: 1-line block ×4, first 2 shown]
	v_add_f32_e32 v151, v151, v186
	v_add_f32_e32 v152, v152, v187
	v_fmac_f32_e32 v165, 0x3e9e377a, v175
	v_fmac_f32_e32 v166, 0x3e9e377a, v178
	;; [unrolled: 1-line block ×4, first 2 shown]
	ds_write2_b64 v160, v[151:152], v[165:166] offset1:1
	v_add_f32_e32 v165, v180, v198
	v_add_f32_e32 v183, v181, v199
	v_fmac_f32_e32 v139, 0x3e9e377a, v175
	v_fmac_f32_e32 v140, 0x3e9e377a, v178
	v_sub_f32_e32 v166, v194, v180
	v_sub_f32_e32 v189, v200, v198
	ds_write_b64 v160, v[139:140] offset:32
	v_fma_f32 v139, -0.5, v165, v172
	v_fma_f32 v140, -0.5, v183, v173
	v_add_f32_e32 v151, v172, v194
	v_add_f32_e32 v152, v173, v195
	v_sub_f32_e32 v185, v195, v201
	v_sub_f32_e32 v187, v194, v200
	v_add_f32_e32 v160, v166, v189
	v_mov_b32_e32 v165, v139
	v_mov_b32_e32 v166, v140
	v_add_f32_e32 v151, v151, v180
	v_add_f32_e32 v152, v152, v181
	v_sub_f32_e32 v179, v181, v199
	v_sub_f32_e32 v182, v180, v194
	;; [unrolled: 1-line block ×5, first 2 shown]
	v_fmac_f32_e32 v165, 0xbf737871, v185
	v_fmac_f32_e32 v166, 0x3f737871, v187
	v_add_f32_e32 v151, v151, v198
	v_add_f32_e32 v152, v152, v199
	;; [unrolled: 1-line block ×3, first 2 shown]
	v_fmac_f32_e32 v165, 0xbf167918, v179
	v_fmac_f32_e32 v166, 0x3f167918, v180
	v_add_f32_e32 v186, v194, v200
	v_add_f32_e32 v188, v195, v201
	;; [unrolled: 1-line block ×4, first 2 shown]
	v_fmac_f32_e32 v165, 0x3e9e377a, v160
	v_fmac_f32_e32 v166, 0x3e9e377a, v167
	ds_write2_b64 v155, v[151:152], v[165:166] offset1:1
	v_fmac_f32_e32 v173, -0.5, v188
	v_fma_f32 v165, -0.5, v186, v172
	v_sub_f32_e32 v181, v181, v195
	v_sub_f32_e32 v192, v199, v201
	v_mov_b32_e32 v152, v173
	v_fmac_f32_e32 v173, 0x3f737871, v180
	v_mov_b32_e32 v151, v165
	v_sub_f32_e32 v190, v198, v200
	v_add_f32_e32 v174, v181, v192
	v_fmac_f32_e32 v173, 0xbf167918, v187
	v_fmac_f32_e32 v151, 0x3f737871, v179
	;; [unrolled: 1-line block ×7, first 2 shown]
	v_add_f32_e32 v172, v182, v190
	v_fmac_f32_e32 v151, 0xbf167918, v185
	v_fmac_f32_e32 v165, 0x3f167918, v185
	;; [unrolled: 1-line block ×5, first 2 shown]
	v_mov_b32_e32 v166, v173
	v_fmac_f32_e32 v151, 0x3e9e377a, v172
	v_fmac_f32_e32 v165, 0x3e9e377a, v172
	;; [unrolled: 1-line block ×5, first 2 shown]
	ds_write2_b64 v155, v[151:152], v[165:166] offset0:2 offset1:3
	ds_write_b64 v155, v[139:140] offset:32
	s_waitcnt lgkmcnt(0)
	s_barrier
	ds_read_b64 v[139:140], v141 offset:25200
	ds_read2_b64 v[172:175], v144 offset0:10 offset1:235
	s_waitcnt lgkmcnt(1)
	v_mul_f32_e32 v151, v39, v140
	v_mul_f32_e32 v39, v39, v139
	v_fmac_f32_e32 v151, v38, v139
	v_fma_f32 v139, v38, v140, -v39
	s_waitcnt lgkmcnt(0)
	v_mul_f32_e32 v140, v37, v175
	v_mul_f32_e32 v37, v37, v174
	v_fmac_f32_e32 v140, v36, v174
	v_fma_f32 v152, v36, v175, -v37
	ds_read2_b64 v[36:39], v146 offset0:12 offset1:237
	v_mul_f32_e32 v155, v29, v173
	v_mul_f32_e32 v29, v29, v172
	v_fmac_f32_e32 v155, v28, v172
	v_fma_f32 v160, v28, v173, -v29
	s_waitcnt lgkmcnt(0)
	v_mul_f32_e32 v165, v31, v39
	v_mul_f32_e32 v28, v31, v38
	v_fmac_f32_e32 v165, v30, v38
	v_fma_f32 v38, v30, v39, -v28
	ds_read2_b64 v[28:31], v147 offset0:8 offset1:233
	;; [unrolled: 10-line block ×3, first 2 shown]
	v_mul_f32_e32 v167, v35, v29
	v_fmac_f32_e32 v167, v34, v28
	v_mul_f32_e32 v28, v35, v28
	v_fma_f32 v34, v34, v29, -v28
	ds_read2_b64 v[28:31], v148 offset0:6 offset1:231
	s_waitcnt lgkmcnt(1)
	v_mul_f32_e32 v35, v33, v19
	v_fmac_f32_e32 v35, v32, v18
	v_mul_f32_e32 v18, v33, v18
	v_mul_f32_e32 v33, v21, v17
	v_fmac_f32_e32 v33, v20, v16
	v_mul_f32_e32 v16, v21, v16
	v_fma_f32 v172, v20, v17, -v16
	s_waitcnt lgkmcnt(0)
	v_mul_f32_e32 v173, v23, v31
	v_mul_f32_e32 v16, v23, v30
	v_fma_f32 v32, v32, v19, -v18
	v_fmac_f32_e32 v173, v22, v30
	v_fma_f32 v30, v22, v31, -v16
	ds_read2_b64 v[16:19], v149 offset0:2 offset1:227
	ds_read2_b64 v[20:23], v141 offset1:225
	v_mul_f32_e32 v31, v7, v29
	v_mul_f32_e32 v7, v7, v28
	v_fmac_f32_e32 v31, v6, v28
	v_fma_f32 v28, v6, v29, -v7
	s_waitcnt lgkmcnt(1)
	v_mul_f32_e32 v29, v5, v19
	v_mul_f32_e32 v5, v5, v18
	v_fmac_f32_e32 v29, v4, v18
	v_fma_f32 v174, v4, v19, -v5
	v_add_f32_e32 v6, v31, v37
	v_add_f32_e32 v7, v28, v166
	v_sub_f32_e32 v4, v29, v31
	v_sub_f32_e32 v5, v39, v37
	s_waitcnt lgkmcnt(0)
	v_fma_f32 v6, -0.5, v6, v20
	v_fma_f32 v7, -0.5, v7, v21
	v_sub_f32_e32 v18, v174, v28
	v_sub_f32_e32 v19, v36, v166
	v_add_f32_e32 v175, v4, v5
	v_add_f32_e32 v4, v20, v29
	;; [unrolled: 1-line block ×4, first 2 shown]
	v_sub_f32_e32 v177, v174, v36
	v_mov_b32_e32 v18, v6
	v_mov_b32_e32 v19, v7
	v_sub_f32_e32 v179, v29, v39
	v_add_f32_e32 v4, v4, v31
	v_add_f32_e32 v5, v5, v28
	v_fmac_f32_e32 v18, 0xbf737871, v177
	v_sub_f32_e32 v178, v28, v166
	v_fmac_f32_e32 v19, 0x3f737871, v179
	v_sub_f32_e32 v180, v31, v37
	v_add_f32_e32 v4, v4, v37
	v_add_f32_e32 v5, v5, v166
	v_fmac_f32_e32 v18, 0xbf167918, v178
	v_fmac_f32_e32 v19, 0x3f167918, v180
	v_add_f32_e32 v4, v4, v39
	v_add_f32_e32 v5, v5, v36
	v_fmac_f32_e32 v18, 0x3e9e377a, v175
	v_fmac_f32_e32 v19, 0x3e9e377a, v176
	s_barrier
	ds_write2_b64 v164, v[4:5], v[18:19] offset1:5
	v_sub_f32_e32 v4, v31, v29
	v_add_f32_e32 v5, v29, v39
	v_sub_f32_e32 v18, v37, v39
	v_add_f32_e32 v19, v4, v18
	v_fma_f32 v4, -0.5, v5, v20
	v_mov_b32_e32 v18, v4
	v_fmac_f32_e32 v18, 0x3f737871, v178
	v_fmac_f32_e32 v4, 0xbf737871, v178
	;; [unrolled: 1-line block ×4, first 2 shown]
	v_add_f32_e32 v5, v174, v36
	v_fmac_f32_e32 v18, 0x3e9e377a, v19
	v_fmac_f32_e32 v4, 0x3e9e377a, v19
	v_fma_f32 v5, -0.5, v5, v21
	v_sub_f32_e32 v19, v28, v174
	v_sub_f32_e32 v20, v166, v36
	v_add_f32_e32 v20, v19, v20
	v_mov_b32_e32 v19, v5
	v_fmac_f32_e32 v19, 0xbf737871, v180
	v_fmac_f32_e32 v5, 0x3f737871, v180
	;; [unrolled: 1-line block ×10, first 2 shown]
	ds_write2_b64 v164, v[18:19], v[4:5] offset0:10 offset1:15
	v_fmac_f32_e32 v6, 0x3e9e377a, v175
	v_fmac_f32_e32 v7, 0x3e9e377a, v176
	v_add_f32_e32 v4, v173, v155
	v_add_f32_e32 v5, v33, v165
	ds_write_b64 v164, v[6:7] offset:160
	v_add_f32_e32 v18, v22, v33
	v_fma_f32 v4, -0.5, v4, v22
	v_fma_f32 v22, -0.5, v5, v22
	v_sub_f32_e32 v5, v173, v33
	v_sub_f32_e32 v6, v155, v165
	v_add_f32_e32 v5, v5, v6
	v_sub_f32_e32 v20, v30, v160
	v_mov_b32_e32 v6, v22
	v_fmac_f32_e32 v6, 0x3f737871, v20
	v_sub_f32_e32 v21, v172, v38
	v_fmac_f32_e32 v22, 0xbf737871, v20
	v_fmac_f32_e32 v6, 0xbf167918, v21
	;; [unrolled: 1-line block ×5, first 2 shown]
	v_add_f32_e32 v5, v30, v160
	v_add_f32_e32 v7, v172, v38
	v_fma_f32 v5, -0.5, v5, v23
	v_add_f32_e32 v19, v23, v172
	v_fmac_f32_e32 v23, -0.5, v7
	v_sub_f32_e32 v7, v30, v172
	v_sub_f32_e32 v28, v160, v38
	v_add_f32_e32 v28, v7, v28
	v_mov_b32_e32 v7, v23
	v_sub_f32_e32 v29, v173, v155
	v_fmac_f32_e32 v7, 0xbf737871, v29
	v_sub_f32_e32 v31, v33, v165
	v_fmac_f32_e32 v23, 0x3f737871, v29
	v_fmac_f32_e32 v7, 0x3f167918, v31
	;; [unrolled: 1-line block ×5, first 2 shown]
	ds_write2_b64 v157, v[6:7], v[22:23] offset0:10 offset1:15
	v_add_f32_e32 v6, v18, v173
	v_sub_f32_e32 v7, v33, v173
	v_sub_f32_e32 v18, v165, v155
	v_add_f32_e32 v22, v7, v18
	v_add_f32_e32 v7, v19, v30
	v_sub_f32_e32 v18, v172, v30
	v_sub_f32_e32 v19, v38, v160
	v_add_f32_e32 v23, v18, v19
	v_mov_b32_e32 v18, v4
	v_mov_b32_e32 v19, v5
	v_fmac_f32_e32 v4, 0x3f737871, v21
	v_fmac_f32_e32 v5, 0xbf737871, v31
	;; [unrolled: 1-line block ×6, first 2 shown]
	v_add_f32_e32 v6, v6, v155
	v_add_f32_e32 v7, v7, v160
	v_fmac_f32_e32 v18, 0xbf167918, v20
	v_fmac_f32_e32 v19, 0x3f167918, v29
	;; [unrolled: 1-line block ×4, first 2 shown]
	v_add_f32_e32 v6, v6, v165
	v_add_f32_e32 v7, v7, v38
	v_fmac_f32_e32 v18, 0x3e9e377a, v22
	v_fmac_f32_e32 v19, 0x3e9e377a, v23
	ds_write_b64 v157, v[4:5] offset:160
	v_add_f32_e32 v4, v167, v140
	v_add_f32_e32 v5, v35, v151
	ds_write2_b64 v157, v[6:7], v[18:19] offset1:5
	v_add_f32_e32 v18, v16, v35
	v_fma_f32 v4, -0.5, v4, v16
	v_fma_f32 v16, -0.5, v5, v16
	v_sub_f32_e32 v5, v167, v35
	v_sub_f32_e32 v6, v140, v151
	v_add_f32_e32 v5, v5, v6
	v_sub_f32_e32 v19, v34, v152
	v_mov_b32_e32 v6, v16
	v_fmac_f32_e32 v6, 0x3f737871, v19
	v_sub_f32_e32 v20, v32, v139
	v_fmac_f32_e32 v16, 0xbf737871, v19
	v_fmac_f32_e32 v6, 0xbf167918, v20
	;; [unrolled: 1-line block ×5, first 2 shown]
	v_add_f32_e32 v5, v34, v152
	v_add_f32_e32 v7, v32, v139
	v_fma_f32 v5, -0.5, v5, v17
	v_add_f32_e32 v21, v17, v32
	v_fmac_f32_e32 v17, -0.5, v7
	v_sub_f32_e32 v7, v34, v32
	v_sub_f32_e32 v22, v152, v139
	v_add_f32_e32 v22, v7, v22
	v_mov_b32_e32 v7, v17
	v_sub_f32_e32 v23, v167, v140
	v_fmac_f32_e32 v7, 0xbf737871, v23
	v_sub_f32_e32 v28, v35, v151
	v_fmac_f32_e32 v17, 0x3f737871, v23
	v_fmac_f32_e32 v7, 0x3f167918, v28
	v_fmac_f32_e32 v17, 0xbf167918, v28
	v_fmac_f32_e32 v7, 0x3e9e377a, v22
	v_fmac_f32_e32 v17, 0x3e9e377a, v22
	ds_write2_b64 v153, v[6:7], v[16:17] offset0:10 offset1:15
	v_sub_f32_e32 v7, v35, v167
	v_sub_f32_e32 v16, v151, v140
	v_add_f32_e32 v6, v18, v167
	v_add_f32_e32 v18, v7, v16
	v_sub_f32_e32 v16, v32, v34
	v_sub_f32_e32 v17, v139, v152
	v_add_f32_e32 v7, v21, v34
	v_add_f32_e32 v21, v16, v17
	v_mov_b32_e32 v16, v4
	v_mov_b32_e32 v17, v5
	v_fmac_f32_e32 v16, 0xbf737871, v20
	v_fmac_f32_e32 v17, 0x3f737871, v28
	;; [unrolled: 1-line block ×4, first 2 shown]
	v_add_f32_e32 v6, v6, v140
	v_add_f32_e32 v7, v7, v152
	v_fmac_f32_e32 v16, 0xbf167918, v19
	v_fmac_f32_e32 v17, 0x3f167918, v23
	;; [unrolled: 1-line block ×4, first 2 shown]
	v_add_f32_e32 v6, v6, v151
	v_add_f32_e32 v7, v7, v139
	v_fmac_f32_e32 v16, 0x3e9e377a, v18
	v_fmac_f32_e32 v17, 0x3e9e377a, v21
	;; [unrolled: 1-line block ×4, first 2 shown]
	ds_write2_b64 v153, v[6:7], v[16:17] offset1:5
	ds_write_b64 v153, v[4:5] offset:160
	s_waitcnt lgkmcnt(0)
	s_barrier
	ds_read_b64 v[4:5], v141 offset:25200
	ds_read2_b64 v[16:19], v144 offset0:10 offset1:235
	s_waitcnt lgkmcnt(1)
	v_mul_f32_e32 v6, v87, v5
	v_fmac_f32_e32 v6, v86, v4
	v_mul_f32_e32 v4, v87, v4
	v_fma_f32 v4, v86, v5, -v4
	s_waitcnt lgkmcnt(0)
	v_mul_f32_e32 v28, v85, v19
	v_mul_f32_e32 v5, v85, v18
	v_fmac_f32_e32 v28, v84, v18
	v_fma_f32 v5, v84, v19, -v5
	ds_read2_b64 v[18:21], v146 offset0:12 offset1:237
	v_mul_f32_e32 v29, v25, v17
	v_mul_f32_e32 v7, v25, v16
	v_fmac_f32_e32 v29, v24, v16
	v_fma_f32 v24, v24, v17, -v7
	s_waitcnt lgkmcnt(0)
	v_mul_f32_e32 v25, v27, v21
	v_mul_f32_e32 v7, v27, v20
	v_fmac_f32_e32 v25, v26, v20
	v_fma_f32 v26, v26, v21, -v7
	ds_read2_b64 v[20:23], v147 offset0:8 offset1:233
	v_mul_f32_e32 v7, v11, v18
	v_mul_f32_e32 v27, v11, v19
	v_fma_f32 v30, v10, v19, -v7
	v_fmac_f32_e32 v27, v10, v18
	s_waitcnt lgkmcnt(0)
	v_mul_f32_e32 v31, v9, v23
	v_mul_f32_e32 v7, v9, v22
	v_fmac_f32_e32 v31, v8, v22
	v_fma_f32 v22, v8, v23, -v7
	ds_read2_b64 v[7:10], v145 offset0:4 offset1:229
	ds_read2_b64 v[16:19], v148 offset0:6 offset1:231
	v_mul_f32_e32 v23, v83, v21
	v_mul_f32_e32 v11, v83, v20
	v_fmac_f32_e32 v23, v82, v20
	s_waitcnt lgkmcnt(1)
	v_mul_f32_e32 v33, v13, v8
	v_fma_f32 v20, v82, v21, -v11
	v_mul_f32_e32 v21, v81, v10
	v_fmac_f32_e32 v33, v12, v7
	v_mul_f32_e32 v7, v13, v7
	v_fmac_f32_e32 v21, v80, v9
	v_mul_f32_e32 v9, v81, v9
	v_fma_f32 v34, v12, v8, -v7
	s_waitcnt lgkmcnt(0)
	v_mul_f32_e32 v7, v15, v18
	v_fma_f32 v32, v80, v10, -v9
	v_mul_f32_e32 v35, v15, v19
	v_fma_f32 v15, v14, v19, -v7
	ds_read2_b64 v[7:10], v149 offset0:2 offset1:227
	v_fmac_f32_e32 v35, v14, v18
	ds_read2_b64 v[11:14], v141 offset1:225
	v_mul_f32_e32 v18, v3, v17
	v_mul_f32_e32 v3, v3, v16
	v_fmac_f32_e32 v18, v2, v16
	v_fma_f32 v16, v2, v17, -v3
	s_waitcnt lgkmcnt(1)
	v_mul_f32_e32 v17, v1, v10
	v_mul_f32_e32 v1, v1, v9
	v_fmac_f32_e32 v17, v0, v9
	v_fma_f32 v19, v0, v10, -v1
	v_add_f32_e32 v2, v18, v31
	v_add_f32_e32 v3, v16, v22
	v_sub_f32_e32 v0, v17, v18
	v_sub_f32_e32 v1, v27, v31
	s_waitcnt lgkmcnt(0)
	v_fma_f32 v2, -0.5, v2, v11
	v_fma_f32 v3, -0.5, v3, v12
	v_sub_f32_e32 v9, v19, v16
	v_sub_f32_e32 v10, v30, v22
	v_add_f32_e32 v36, v0, v1
	v_add_f32_e32 v0, v11, v17
	;; [unrolled: 1-line block ×4, first 2 shown]
	v_sub_f32_e32 v38, v19, v30
	v_mov_b32_e32 v9, v2
	v_mov_b32_e32 v10, v3
	v_sub_f32_e32 v80, v17, v27
	v_add_f32_e32 v0, v0, v18
	v_add_f32_e32 v1, v1, v16
	v_fmac_f32_e32 v9, 0xbf737871, v38
	v_sub_f32_e32 v39, v16, v22
	v_fmac_f32_e32 v10, 0x3f737871, v80
	v_sub_f32_e32 v81, v18, v31
	v_add_f32_e32 v0, v0, v31
	v_add_f32_e32 v1, v1, v22
	v_fmac_f32_e32 v9, 0xbf167918, v39
	v_fmac_f32_e32 v10, 0x3f167918, v81
	v_add_f32_e32 v0, v0, v27
	v_add_f32_e32 v1, v1, v30
	v_fmac_f32_e32 v9, 0x3e9e377a, v36
	v_fmac_f32_e32 v10, 0x3e9e377a, v37
	s_barrier
	ds_write2_b64 v150, v[0:1], v[9:10] offset1:25
	v_sub_f32_e32 v0, v18, v17
	v_add_f32_e32 v1, v17, v27
	v_sub_f32_e32 v9, v31, v27
	v_add_f32_e32 v10, v0, v9
	v_fma_f32 v0, -0.5, v1, v11
	v_mov_b32_e32 v9, v0
	v_fmac_f32_e32 v9, 0x3f737871, v39
	v_fmac_f32_e32 v0, 0xbf737871, v39
	;; [unrolled: 1-line block ×4, first 2 shown]
	v_add_f32_e32 v1, v19, v30
	v_fmac_f32_e32 v9, 0x3e9e377a, v10
	v_fmac_f32_e32 v0, 0x3e9e377a, v10
	v_fma_f32 v1, -0.5, v1, v12
	v_sub_f32_e32 v10, v16, v19
	v_sub_f32_e32 v11, v22, v30
	v_add_f32_e32 v11, v10, v11
	v_mov_b32_e32 v10, v1
	v_fmac_f32_e32 v10, 0xbf737871, v81
	v_fmac_f32_e32 v1, 0x3f737871, v81
	;; [unrolled: 1-line block ×10, first 2 shown]
	ds_write2_b64 v150, v[9:10], v[0:1] offset0:50 offset1:75
	v_fmac_f32_e32 v2, 0x3e9e377a, v36
	v_fmac_f32_e32 v3, 0x3e9e377a, v37
	v_add_f32_e32 v0, v35, v29
	v_add_f32_e32 v1, v33, v25
	ds_write_b64 v150, v[2:3] offset:800
	v_add_f32_e32 v9, v13, v33
	v_fma_f32 v0, -0.5, v0, v13
	v_fma_f32 v13, -0.5, v1, v13
	v_sub_f32_e32 v1, v35, v33
	v_sub_f32_e32 v2, v29, v25
	v_add_f32_e32 v1, v1, v2
	v_sub_f32_e32 v11, v15, v24
	v_mov_b32_e32 v2, v13
	v_fmac_f32_e32 v2, 0x3f737871, v11
	v_sub_f32_e32 v12, v34, v26
	v_fmac_f32_e32 v13, 0xbf737871, v11
	v_fmac_f32_e32 v2, 0xbf167918, v12
	;; [unrolled: 1-line block ×5, first 2 shown]
	v_add_f32_e32 v1, v15, v24
	v_add_f32_e32 v3, v34, v26
	v_fma_f32 v1, -0.5, v1, v14
	v_add_f32_e32 v10, v14, v34
	v_fmac_f32_e32 v14, -0.5, v3
	v_sub_f32_e32 v3, v15, v34
	v_sub_f32_e32 v16, v24, v26
	v_add_f32_e32 v16, v3, v16
	v_mov_b32_e32 v3, v14
	v_sub_f32_e32 v17, v35, v29
	v_fmac_f32_e32 v3, 0xbf737871, v17
	v_sub_f32_e32 v18, v33, v25
	v_fmac_f32_e32 v14, 0x3f737871, v17
	v_fmac_f32_e32 v3, 0x3f167918, v18
	v_fmac_f32_e32 v14, 0xbf167918, v18
	v_fmac_f32_e32 v3, 0x3e9e377a, v16
	v_fmac_f32_e32 v14, 0x3e9e377a, v16
	ds_write2_b64 v154, v[2:3], v[13:14] offset0:50 offset1:75
	v_add_f32_e32 v2, v9, v35
	v_sub_f32_e32 v3, v33, v35
	v_sub_f32_e32 v9, v25, v29
	v_add_f32_e32 v13, v3, v9
	v_add_f32_e32 v3, v10, v15
	v_sub_f32_e32 v9, v34, v15
	v_sub_f32_e32 v10, v26, v24
	v_add_f32_e32 v14, v9, v10
	v_mov_b32_e32 v9, v0
	v_mov_b32_e32 v10, v1
	v_fmac_f32_e32 v0, 0x3f737871, v12
	v_fmac_f32_e32 v1, 0xbf737871, v18
	v_fmac_f32_e32 v0, 0x3f167918, v11
	v_fmac_f32_e32 v1, 0xbf167918, v17
	v_fmac_f32_e32 v0, 0x3e9e377a, v13
	v_fmac_f32_e32 v1, 0x3e9e377a, v14
	v_fmac_f32_e32 v9, 0xbf737871, v12
	v_fmac_f32_e32 v10, 0x3f737871, v18
	ds_write_b64 v154, v[0:1] offset:800
	v_sub_f32_e32 v0, v21, v23
	v_sub_f32_e32 v1, v6, v28
	v_add_f32_e32 v2, v2, v29
	v_add_f32_e32 v3, v3, v24
	v_fmac_f32_e32 v9, 0xbf167918, v11
	v_fmac_f32_e32 v10, 0x3f167918, v17
	v_add_f32_e32 v1, v0, v1
	v_add_f32_e32 v0, v23, v28
	;; [unrolled: 1-line block ×4, first 2 shown]
	v_fmac_f32_e32 v9, 0x3e9e377a, v13
	v_fmac_f32_e32 v10, 0x3e9e377a, v14
	v_fma_f32 v0, -0.5, v0, v7
	ds_write2_b64 v154, v[2:3], v[9:10] offset1:25
	v_sub_f32_e32 v3, v32, v4
	v_mov_b32_e32 v2, v0
	v_fmac_f32_e32 v2, 0xbf737871, v3
	v_sub_f32_e32 v10, v20, v5
	v_fmac_f32_e32 v0, 0x3f737871, v3
	v_fmac_f32_e32 v2, 0xbf167918, v10
	;; [unrolled: 1-line block ×3, first 2 shown]
	v_add_f32_e32 v9, v21, v6
	v_fmac_f32_e32 v2, 0x3e9e377a, v1
	v_fmac_f32_e32 v0, 0x3e9e377a, v1
	v_add_f32_e32 v1, v7, v21
	v_fma_f32 v7, -0.5, v9, v7
	v_sub_f32_e32 v9, v23, v21
	v_sub_f32_e32 v11, v28, v6
	v_add_f32_e32 v11, v9, v11
	v_mov_b32_e32 v9, v7
	v_fmac_f32_e32 v9, 0x3f737871, v10
	v_fmac_f32_e32 v7, 0xbf737871, v10
	;; [unrolled: 1-line block ×4, first 2 shown]
	v_add_f32_e32 v1, v1, v23
	v_add_f32_e32 v3, v8, v32
	v_add_f32_e32 v1, v1, v28
	v_add_f32_e32 v3, v3, v20
	v_fmac_f32_e32 v9, 0x3e9e377a, v11
	v_fmac_f32_e32 v7, 0x3e9e377a, v11
	v_add_f32_e32 v3, v3, v5
	v_add_f32_e32 v11, v1, v6
	;; [unrolled: 1-line block ×4, first 2 shown]
	v_fma_f32 v1, -0.5, v1, v8
	v_sub_f32_e32 v3, v32, v20
	v_sub_f32_e32 v10, v4, v5
	;; [unrolled: 1-line block ×3, first 2 shown]
	v_add_f32_e32 v10, v3, v10
	v_mov_b32_e32 v3, v1
	v_sub_f32_e32 v13, v23, v28
	v_fmac_f32_e32 v3, 0x3f737871, v6
	v_fmac_f32_e32 v1, 0xbf737871, v6
	;; [unrolled: 1-line block ×6, first 2 shown]
	v_add_f32_e32 v10, v32, v4
	v_fmac_f32_e32 v8, -0.5, v10
	v_sub_f32_e32 v10, v20, v32
	v_sub_f32_e32 v4, v5, v4
	v_add_f32_e32 v4, v10, v4
	v_mov_b32_e32 v10, v8
	v_fmac_f32_e32 v8, 0x3f737871, v13
	v_fmac_f32_e32 v10, 0xbf737871, v13
	;; [unrolled: 1-line block ×6, first 2 shown]
	ds_write2_b64 v161, v[11:12], v[2:3] offset1:25
	ds_write2_b64 v161, v[9:10], v[7:8] offset0:50 offset1:75
	ds_write_b64 v161, v[0:1] offset:800
	s_waitcnt lgkmcnt(0)
	s_barrier
	ds_read2_b64 v[2:5], v145 offset0:4 offset1:229
	ds_read2_b64 v[6:9], v144 offset0:10 offset1:235
	s_waitcnt lgkmcnt(1)
	v_mul_f32_e32 v0, v61, v4
	v_mul_f32_e32 v14, v61, v5
	v_fma_f32 v15, v60, v5, -v0
	s_waitcnt lgkmcnt(0)
	v_mul_f32_e32 v16, v63, v7
	v_mul_f32_e32 v0, v63, v6
	v_fmac_f32_e32 v14, v60, v4
	v_fmac_f32_e32 v16, v62, v6
	v_fma_f32 v17, v62, v7, -v0
	ds_read2_b64 v[4:7], v148 offset0:6 offset1:231
	v_mul_f32_e32 v0, v55, v8
	v_mul_f32_e32 v18, v55, v9
	v_fma_f32 v19, v54, v9, -v0
	v_fmac_f32_e32 v18, v54, v8
	s_waitcnt lgkmcnt(0)
	v_mul_f32_e32 v0, v53, v4
	v_mul_f32_e32 v20, v53, v5
	v_fma_f32 v21, v52, v5, -v0
	ds_read2_b64 v[8:11], v146 offset0:12 offset1:237
	v_mul_f32_e32 v22, v77, v7
	v_mul_f32_e32 v0, v77, v6
	v_fmac_f32_e32 v20, v52, v4
	v_fmac_f32_e32 v22, v76, v6
	v_fma_f32 v23, v76, v7, -v0
	ds_read2_b64 v[4:7], v147 offset0:8 offset1:233
	s_waitcnt lgkmcnt(1)
	v_mul_f32_e32 v0, v79, v8
	v_fma_f32 v25, v78, v9, -v0
	v_mul_f32_e32 v0, v51, v10
	v_fma_f32 v27, v50, v11, -v0
	s_waitcnt lgkmcnt(0)
	v_mul_f32_e32 v28, v49, v5
	ds_read_b64 v[0:1], v141 offset:25200
	v_fmac_f32_e32 v28, v48, v4
	v_mul_f32_e32 v4, v49, v4
	v_fma_f32 v29, v48, v5, -v4
	v_mul_f32_e32 v30, v69, v7
	v_mul_f32_e32 v4, v69, v6
	v_fmac_f32_e32 v30, v68, v6
	v_fma_f32 v31, v68, v7, -v4
	ds_read2_b64 v[4:7], v141 offset1:225
	s_waitcnt lgkmcnt(1)
	v_mul_f32_e32 v32, v71, v1
	v_fmac_f32_e32 v32, v70, v0
	v_mul_f32_e32 v0, v71, v0
	v_fma_f32 v33, v70, v1, -v0
	s_waitcnt lgkmcnt(0)
	v_add_f32_e32 v1, v4, v14
	v_add_f32_e32 v0, v14, v16
	;; [unrolled: 1-line block ×4, first 2 shown]
	v_mul_f32_e32 v24, v79, v9
	v_fma_f32 v4, -0.5, v0, v4
	v_add_f32_e32 v13, v1, v17
	v_add_f32_e32 v1, v15, v17
	v_fmac_f32_e32 v24, v78, v8
	v_sub_f32_e32 v8, v15, v17
	v_mov_b32_e32 v0, v4
	v_fma_f32 v5, -0.5, v1, v5
	v_fmac_f32_e32 v0, 0xbf5db3d7, v8
	v_fmac_f32_e32 v4, 0x3f5db3d7, v8
	v_sub_f32_e32 v8, v14, v16
	v_mov_b32_e32 v1, v5
	v_fmac_f32_e32 v1, 0x3f5db3d7, v8
	v_fmac_f32_e32 v5, 0xbf5db3d7, v8
	v_add_f32_e32 v8, v6, v20
	v_add_f32_e32 v16, v8, v18
	;; [unrolled: 1-line block ×6, first 2 shown]
	v_fma_f32 v6, -0.5, v9, v6
	v_fmac_f32_e32 v7, -0.5, v8
	v_mul_f32_e32 v26, v51, v11
	v_sub_f32_e32 v9, v21, v19
	v_mov_b32_e32 v14, v6
	v_sub_f32_e32 v8, v20, v18
	v_mov_b32_e32 v15, v7
	v_fmac_f32_e32 v26, v50, v10
	v_fmac_f32_e32 v14, 0xbf5db3d7, v9
	;; [unrolled: 1-line block ×5, first 2 shown]
	ds_read2_b64 v[8:11], v149 offset0:2 offset1:227
	s_waitcnt lgkmcnt(0)
	s_barrier
	ds_write2_b64 v158, v[12:13], v[0:1] offset1:125
	v_add_f32_e32 v0, v22, v24
	v_fma_f32 v12, -0.5, v0, v8
	v_sub_f32_e32 v0, v23, v25
	v_mov_b32_e32 v18, v12
	v_fmac_f32_e32 v18, 0xbf5db3d7, v0
	v_fmac_f32_e32 v12, 0x3f5db3d7, v0
	v_add_f32_e32 v0, v8, v22
	v_add_f32_e32 v20, v0, v24
	;; [unrolled: 1-line block ×5, first 2 shown]
	v_fma_f32 v13, -0.5, v0, v9
	v_sub_f32_e32 v0, v22, v24
	v_mov_b32_e32 v19, v13
	v_fmac_f32_e32 v19, 0x3f5db3d7, v0
	v_fmac_f32_e32 v13, 0xbf5db3d7, v0
	v_add_f32_e32 v0, v10, v28
	v_add_f32_e32 v22, v0, v26
	v_add_f32_e32 v0, v11, v29
	v_add_f32_e32 v23, v0, v27
	v_add_f32_e32 v0, v29, v27
	v_fmac_f32_e32 v11, -0.5, v0
	v_add_f32_e32 v1, v28, v26
	v_sub_f32_e32 v0, v28, v26
	v_mov_b32_e32 v9, v11
	v_fma_f32 v10, -0.5, v1, v10
	v_fmac_f32_e32 v9, 0x3f5db3d7, v0
	v_fmac_f32_e32 v11, 0xbf5db3d7, v0
	v_add_f32_e32 v0, v2, v30
	v_sub_f32_e32 v1, v29, v27
	v_mov_b32_e32 v8, v10
	v_add_f32_e32 v26, v0, v32
	v_add_f32_e32 v0, v3, v31
	v_fmac_f32_e32 v8, 0xbf5db3d7, v1
	v_fmac_f32_e32 v10, 0x3f5db3d7, v1
	v_add_f32_e32 v1, v30, v32
	v_add_f32_e32 v27, v0, v33
	;; [unrolled: 1-line block ×3, first 2 shown]
	v_fma_f32 v2, -0.5, v1, v2
	v_fmac_f32_e32 v3, -0.5, v0
	v_sub_f32_e32 v1, v31, v33
	v_mov_b32_e32 v24, v2
	v_sub_f32_e32 v0, v30, v32
	v_mov_b32_e32 v25, v3
	v_fmac_f32_e32 v24, 0xbf5db3d7, v1
	v_fmac_f32_e32 v2, 0x3f5db3d7, v1
	;; [unrolled: 1-line block ×4, first 2 shown]
	ds_write_b64 v158, v[4:5] offset:2000
	ds_write2_b64 v156, v[16:17], v[14:15] offset1:125
	ds_write_b64 v156, v[6:7] offset:2000
	ds_write2_b64 v159, v[20:21], v[18:19] offset1:125
	;; [unrolled: 2-line block ×4, first 2 shown]
	ds_write_b64 v163, v[2:3] offset:2000
	s_waitcnt lgkmcnt(0)
	s_barrier
	ds_read2_b64 v[2:5], v141 offset1:225
	ds_read2_b64 v[6:9], v145 offset0:4 offset1:229
	ds_read2_b64 v[10:13], v144 offset0:10 offset1:235
	;; [unrolled: 1-line block ×6, first 2 shown]
	ds_read_b64 v[30:31], v141 offset:25200
	s_waitcnt lgkmcnt(6)
	v_mul_f32_e32 v32, v45, v9
	v_fmac_f32_e32 v32, v44, v8
	v_mul_f32_e32 v8, v45, v8
	v_fma_f32 v33, v44, v9, -v8
	s_waitcnt lgkmcnt(5)
	v_mul_f32_e32 v8, v47, v10
	v_mul_f32_e32 v34, v47, v11
	v_fma_f32 v11, v46, v11, -v8
	s_waitcnt lgkmcnt(4)
	v_mul_f32_e32 v8, v41, v14
	v_mul_f32_e32 v35, v41, v15
	v_fma_f32 v15, v40, v15, -v8
	v_mul_f32_e32 v8, v43, v12
	v_fma_f32 v37, v42, v13, -v8
	;; [unrolled: 2-line block ×3, first 2 shown]
	s_waitcnt lgkmcnt(2)
	v_mul_f32_e32 v8, v67, v22
	v_fmac_f32_e32 v35, v40, v14
	v_mul_f32_e32 v40, v67, v23
	v_fma_f32 v23, v66, v23, -v8
	s_waitcnt lgkmcnt(1)
	v_mul_f32_e32 v8, v57, v26
	v_mul_f32_e32 v41, v57, v27
	v_fma_f32 v27, v56, v27, -v8
	v_mul_f32_e32 v8, v59, v24
	v_fmac_f32_e32 v34, v46, v10
	v_mul_f32_e32 v36, v43, v13
	v_fma_f32 v43, v58, v25, -v8
	v_mul_f32_e32 v8, v73, v28
	v_fma_f32 v45, v72, v29, -v8
	s_waitcnt lgkmcnt(0)
	v_mul_f32_e32 v8, v75, v30
	v_add_f32_e32 v9, v32, v34
	v_mul_f32_e32 v46, v75, v31
	v_fma_f32 v31, v74, v31, -v8
	v_add_f32_e32 v8, v2, v32
	v_fma_f32 v2, -0.5, v9, v2
	v_sub_f32_e32 v9, v33, v11
	v_mov_b32_e32 v10, v2
	v_fmac_f32_e32 v10, 0xbf5db3d7, v9
	v_fmac_f32_e32 v2, 0x3f5db3d7, v9
	v_add_f32_e32 v9, v3, v33
	v_add_f32_e32 v9, v9, v11
	;; [unrolled: 1-line block ×3, first 2 shown]
	v_fmac_f32_e32 v36, v42, v12
	v_fma_f32 v3, -0.5, v11, v3
	v_sub_f32_e32 v12, v32, v34
	v_mov_b32_e32 v11, v3
	v_add_f32_e32 v13, v35, v36
	v_fmac_f32_e32 v11, 0x3f5db3d7, v12
	v_fmac_f32_e32 v3, 0xbf5db3d7, v12
	v_add_f32_e32 v12, v4, v35
	v_fma_f32 v4, -0.5, v13, v4
	v_sub_f32_e32 v13, v15, v37
	v_mov_b32_e32 v14, v4
	v_mul_f32_e32 v38, v65, v17
	v_fmac_f32_e32 v14, 0xbf5db3d7, v13
	v_fmac_f32_e32 v4, 0x3f5db3d7, v13
	v_add_f32_e32 v13, v5, v15
	v_add_f32_e32 v15, v15, v37
	v_fmac_f32_e32 v38, v64, v16
	v_fmac_f32_e32 v40, v66, v22
	v_fmac_f32_e32 v5, -0.5, v15
	v_sub_f32_e32 v16, v35, v36
	v_mov_b32_e32 v15, v5
	v_add_f32_e32 v17, v38, v40
	v_fmac_f32_e32 v15, 0x3f5db3d7, v16
	v_fmac_f32_e32 v5, 0xbf5db3d7, v16
	v_add_f32_e32 v16, v18, v38
	v_fma_f32 v18, -0.5, v17, v18
	v_sub_f32_e32 v17, v39, v23
	v_mov_b32_e32 v22, v18
	v_fmac_f32_e32 v22, 0xbf5db3d7, v17
	v_fmac_f32_e32 v18, 0x3f5db3d7, v17
	v_add_f32_e32 v17, v19, v39
	v_mul_f32_e32 v42, v59, v25
	v_add_f32_e32 v17, v17, v23
	v_add_f32_e32 v23, v39, v23
	v_fmac_f32_e32 v41, v56, v26
	v_fmac_f32_e32 v42, v58, v24
	v_fma_f32 v19, -0.5, v23, v19
	v_sub_f32_e32 v24, v38, v40
	v_mov_b32_e32 v23, v19
	v_add_f32_e32 v25, v41, v42
	v_fmac_f32_e32 v23, 0x3f5db3d7, v24
	v_fmac_f32_e32 v19, 0xbf5db3d7, v24
	v_add_f32_e32 v24, v20, v41
	v_fma_f32 v20, -0.5, v25, v20
	v_sub_f32_e32 v25, v27, v43
	v_mov_b32_e32 v26, v20
	v_mul_f32_e32 v44, v73, v29
	v_fmac_f32_e32 v26, 0xbf5db3d7, v25
	v_fmac_f32_e32 v20, 0x3f5db3d7, v25
	v_add_f32_e32 v25, v21, v27
	v_add_f32_e32 v27, v27, v43
	v_fmac_f32_e32 v44, v72, v28
	v_fmac_f32_e32 v46, v74, v30
	v_fmac_f32_e32 v21, -0.5, v27
	v_sub_f32_e32 v28, v41, v42
	v_mov_b32_e32 v27, v21
	v_add_f32_e32 v29, v44, v46
	v_fmac_f32_e32 v27, 0x3f5db3d7, v28
	v_fmac_f32_e32 v21, 0xbf5db3d7, v28
	v_add_f32_e32 v28, v6, v44
	v_fma_f32 v6, -0.5, v29, v6
	v_sub_f32_e32 v29, v45, v31
	v_mov_b32_e32 v30, v6
	v_fmac_f32_e32 v30, 0xbf5db3d7, v29
	v_fmac_f32_e32 v6, 0x3f5db3d7, v29
	v_add_f32_e32 v29, v7, v45
	v_add_f32_e32 v29, v29, v31
	;; [unrolled: 1-line block ×3, first 2 shown]
	v_fmac_f32_e32 v7, -0.5, v31
	v_sub_f32_e32 v32, v44, v46
	v_mov_b32_e32 v31, v7
	v_add_f32_e32 v8, v8, v34
	v_add_f32_e32 v12, v12, v36
	;; [unrolled: 1-line block ×7, first 2 shown]
	v_fmac_f32_e32 v31, 0x3f5db3d7, v32
	v_fmac_f32_e32 v7, 0xbf5db3d7, v32
	s_barrier
	ds_write_b64 v141, v[8:9]
	ds_write_b64 v141, v[10:11] offset:3000
	ds_write_b64 v141, v[2:3] offset:6000
	ds_write_b64 v168, v[12:13]
	ds_write_b64 v168, v[14:15] offset:3000
	ds_write_b64 v168, v[4:5] offset:6000
	;; [unrolled: 1-line block ×5, first 2 shown]
	ds_write_b64 v169, v[24:25]
	ds_write_b64 v169, v[26:27] offset:3000
	ds_write_b64 v169, v[20:21] offset:6000
	;; [unrolled: 1-line block ×5, first 2 shown]
	s_waitcnt lgkmcnt(0)
	s_barrier
	ds_read2_b64 v[2:5], v141 offset1:225
	ds_read2_b64 v[6:9], v145 offset0:4 offset1:229
	ds_read2_b64 v[10:13], v144 offset0:10 offset1:235
	;; [unrolled: 1-line block ×6, first 2 shown]
	ds_read_b64 v[30:31], v141 offset:25200
	s_waitcnt lgkmcnt(6)
	v_mul_f32_e32 v32, v93, v9
	v_fmac_f32_e32 v32, v92, v8
	v_mul_f32_e32 v8, v93, v8
	v_fma_f32 v33, v92, v9, -v8
	s_waitcnt lgkmcnt(5)
	v_mul_f32_e32 v8, v95, v10
	v_mul_f32_e32 v34, v95, v11
	v_fma_f32 v11, v94, v11, -v8
	s_waitcnt lgkmcnt(4)
	v_mul_f32_e32 v8, v89, v14
	v_mul_f32_e32 v35, v89, v15
	v_fma_f32 v15, v88, v15, -v8
	v_mul_f32_e32 v8, v91, v12
	v_fma_f32 v37, v90, v13, -v8
	;; [unrolled: 2-line block ×3, first 2 shown]
	s_waitcnt lgkmcnt(2)
	v_mul_f32_e32 v8, v99, v22
	v_mul_f32_e32 v40, v99, v23
	v_fma_f32 v23, v98, v23, -v8
	s_waitcnt lgkmcnt(1)
	v_mul_f32_e32 v8, v101, v26
	v_mul_f32_e32 v41, v101, v27
	v_fma_f32 v27, v100, v27, -v8
	v_mul_f32_e32 v8, v103, v24
	v_fmac_f32_e32 v34, v94, v10
	v_fma_f32 v43, v102, v25, -v8
	v_mul_f32_e32 v8, v105, v28
	v_fma_f32 v45, v104, v29, -v8
	s_waitcnt lgkmcnt(0)
	v_mul_f32_e32 v8, v107, v30
	v_add_f32_e32 v9, v32, v34
	v_mul_f32_e32 v46, v107, v31
	v_fma_f32 v31, v106, v31, -v8
	v_add_f32_e32 v8, v2, v32
	v_fma_f32 v2, -0.5, v9, v2
	v_sub_f32_e32 v9, v33, v11
	v_mov_b32_e32 v10, v2
	v_fmac_f32_e32 v10, 0xbf5db3d7, v9
	v_fmac_f32_e32 v2, 0x3f5db3d7, v9
	v_add_f32_e32 v9, v3, v33
	v_mul_f32_e32 v36, v91, v13
	v_add_f32_e32 v9, v9, v11
	v_add_f32_e32 v11, v33, v11
	v_fmac_f32_e32 v35, v88, v14
	v_fmac_f32_e32 v36, v90, v12
	v_fma_f32 v3, -0.5, v11, v3
	v_sub_f32_e32 v12, v32, v34
	v_mov_b32_e32 v11, v3
	v_add_f32_e32 v13, v35, v36
	v_fmac_f32_e32 v11, 0x3f5db3d7, v12
	v_fmac_f32_e32 v3, 0xbf5db3d7, v12
	v_add_f32_e32 v12, v4, v35
	v_fma_f32 v4, -0.5, v13, v4
	v_sub_f32_e32 v13, v15, v37
	v_mov_b32_e32 v14, v4
	v_mul_f32_e32 v38, v97, v17
	v_fmac_f32_e32 v14, 0xbf5db3d7, v13
	v_fmac_f32_e32 v4, 0x3f5db3d7, v13
	v_add_f32_e32 v13, v5, v15
	v_add_f32_e32 v15, v15, v37
	v_fmac_f32_e32 v38, v96, v16
	v_fmac_f32_e32 v40, v98, v22
	v_fmac_f32_e32 v5, -0.5, v15
	v_sub_f32_e32 v16, v35, v36
	v_mov_b32_e32 v15, v5
	v_add_f32_e32 v17, v38, v40
	v_fmac_f32_e32 v15, 0x3f5db3d7, v16
	v_fmac_f32_e32 v5, 0xbf5db3d7, v16
	v_add_f32_e32 v16, v18, v38
	v_fma_f32 v18, -0.5, v17, v18
	v_sub_f32_e32 v17, v39, v23
	v_mov_b32_e32 v22, v18
	v_fmac_f32_e32 v22, 0xbf5db3d7, v17
	v_fmac_f32_e32 v18, 0x3f5db3d7, v17
	v_add_f32_e32 v17, v19, v39
	v_mul_f32_e32 v42, v103, v25
	v_add_f32_e32 v17, v17, v23
	v_add_f32_e32 v23, v39, v23
	v_fmac_f32_e32 v41, v100, v26
	v_fmac_f32_e32 v42, v102, v24
	v_fma_f32 v19, -0.5, v23, v19
	v_sub_f32_e32 v24, v38, v40
	v_mov_b32_e32 v23, v19
	v_add_f32_e32 v25, v41, v42
	v_fmac_f32_e32 v23, 0x3f5db3d7, v24
	v_fmac_f32_e32 v19, 0xbf5db3d7, v24
	v_add_f32_e32 v24, v20, v41
	v_fma_f32 v20, -0.5, v25, v20
	v_sub_f32_e32 v25, v27, v43
	v_mov_b32_e32 v26, v20
	v_mul_f32_e32 v44, v105, v29
	v_fmac_f32_e32 v26, 0xbf5db3d7, v25
	v_fmac_f32_e32 v20, 0x3f5db3d7, v25
	v_add_f32_e32 v25, v21, v27
	v_add_f32_e32 v27, v27, v43
	v_fmac_f32_e32 v44, v104, v28
	v_fmac_f32_e32 v46, v106, v30
	v_fmac_f32_e32 v21, -0.5, v27
	v_sub_f32_e32 v28, v41, v42
	v_mov_b32_e32 v27, v21
	v_add_f32_e32 v29, v44, v46
	v_fmac_f32_e32 v27, 0x3f5db3d7, v28
	v_fmac_f32_e32 v21, 0xbf5db3d7, v28
	v_add_f32_e32 v28, v6, v44
	v_fma_f32 v6, -0.5, v29, v6
	v_sub_f32_e32 v29, v45, v31
	v_mov_b32_e32 v30, v6
	v_fmac_f32_e32 v30, 0xbf5db3d7, v29
	v_fmac_f32_e32 v6, 0x3f5db3d7, v29
	v_add_f32_e32 v29, v7, v45
	v_add_f32_e32 v29, v29, v31
	;; [unrolled: 1-line block ×3, first 2 shown]
	v_fmac_f32_e32 v7, -0.5, v31
	v_sub_f32_e32 v32, v44, v46
	v_mov_b32_e32 v31, v7
	v_add_f32_e32 v8, v8, v34
	v_add_f32_e32 v12, v12, v36
	;; [unrolled: 1-line block ×7, first 2 shown]
	v_fmac_f32_e32 v31, 0x3f5db3d7, v32
	v_fmac_f32_e32 v7, 0xbf5db3d7, v32
	ds_write_b64 v141, v[10:11] offset:9000
	ds_write_b64 v141, v[2:3] offset:18000
	ds_write2_b64 v141, v[8:9], v[12:13] offset1:225
	ds_write2_b64 v148, v[14:15], v[22:23] offset0:6 offset1:231
	ds_write2_b64 v171, v[4:5], v[18:19] offset0:11 offset1:236
	ds_write2_b64 v149, v[16:17], v[24:25] offset0:2 offset1:227
	ds_write_b64 v141, v[20:21] offset:23400
	ds_write_b64 v141, v[28:29] offset:7200
	ds_write2_b64 v147, v[26:27], v[30:31] offset0:8 offset1:233
	ds_write_b64 v141, v[6:7] offset:25200
	s_waitcnt lgkmcnt(0)
	s_barrier
	ds_read2_b64 v[2:5], v141 offset1:225
	v_mad_u64_u32 v[0:1], s[6:7], s2, v124, 0
	v_mad_u64_u32 v[10:11], s[6:7], s0, v143, 0
	s_waitcnt lgkmcnt(0)
	v_mad_u64_u32 v[6:7], s[2:3], s3, v124, v[1:2]
	v_mul_f32_e32 v1, v138, v3
	v_fmac_f32_e32 v1, v137, v2
	v_cvt_f64_f32_e32 v[7:8], v1
	s_mov_b32 s2, 0xe70b7421
	s_mov_b32 s3, 0x3f336b06
	v_mul_f32_e32 v1, v138, v2
	v_mul_f64 v[7:8], v[7:8], s[2:3]
	v_fma_f32 v1, v137, v3, -v1
	v_cvt_f64_f32_e32 v[1:2], v1
	v_mov_b32_e32 v14, s5
	s_mul_hi_u32 s5, s0, 0x1518
	v_mul_f64 v[2:3], v[1:2], s[2:3]
	v_mov_b32_e32 v1, v6
	v_mov_b32_e32 v6, v11
	v_mad_u64_u32 v[11:12], s[6:7], s1, v143, v[6:7]
	v_cvt_f32_f64_e32 v12, v[7:8]
	ds_read2_b64 v[6:9], v149 offset0:2 offset1:227
	v_lshlrev_b64 v[0:1], 3, v[0:1]
	v_cvt_f32_f64_e32 v13, v[2:3]
	v_add_co_u32_e32 v15, vcc, s4, v0
	s_waitcnt lgkmcnt(0)
	v_mul_f32_e32 v2, v136, v9
	v_fmac_f32_e32 v2, v135, v8
	v_cvt_f64_f32_e32 v[2:3], v2
	v_mul_f32_e32 v8, v136, v8
	v_fma_f32 v8, v135, v9, -v8
	v_addc_co_u32_e32 v14, vcc, v14, v1, vcc
	v_mul_f64 v[0:1], v[2:3], s[2:3]
	v_cvt_f64_f32_e32 v[8:9], v8
	v_lshlrev_b64 v[2:3], 3, v[10:11]
	s_mul_i32 s4, s1, 0x1518
	v_add_co_u32_e32 v10, vcc, v15, v2
	v_mul_f64 v[8:9], v[8:9], s[2:3]
	v_addc_co_u32_e32 v11, vcc, v14, v3, vcc
	global_store_dwordx2 v[10:11], v[12:13], off
	v_cvt_f32_f64_e32 v12, v[0:1]
	ds_read2_b64 v[0:3], v148 offset0:6 offset1:231
	s_add_i32 s4, s5, s4
	s_mul_i32 s5, s0, 0x1518
	v_cvt_f32_f64_e32 v13, v[8:9]
	v_mov_b32_e32 v17, s4
	s_waitcnt lgkmcnt(0)
	v_mul_f32_e32 v8, v134, v1
	v_fmac_f32_e32 v8, v133, v0
	v_mul_f32_e32 v0, v134, v0
	v_fma_f32 v0, v133, v1, -v0
	v_cvt_f64_f32_e32 v[8:9], v8
	v_cvt_f64_f32_e32 v[0:1], v0
	v_add_co_u32_e32 v16, vcc, s5, v10
	v_mul_f64 v[14:15], v[8:9], s[2:3]
	v_mul_f64 v[0:1], v[0:1], s[2:3]
	v_addc_co_u32_e32 v17, vcc, v11, v17, vcc
	ds_read2_b64 v[8:11], v147 offset0:8 offset1:233
	global_store_dwordx2 v[16:17], v[12:13], off
	v_mov_b32_e32 v20, s4
	v_add_co_u32_e32 v16, vcc, s5, v16
	v_cvt_f32_f64_e32 v14, v[14:15]
	v_cvt_f32_f64_e32 v15, v[0:1]
	s_waitcnt lgkmcnt(0)
	v_mul_f32_e32 v0, v132, v11
	v_fmac_f32_e32 v0, v131, v10
	v_mul_f32_e32 v10, v132, v10
	v_fma_f32 v10, v131, v11, -v10
	v_cvt_f64_f32_e32 v[18:19], v10
	ds_read2_b64 v[10:13], v146 offset0:12 offset1:237
	v_cvt_f64_f32_e32 v[0:1], v0
	v_addc_co_u32_e32 v17, vcc, v17, v20, vcc
	global_store_dwordx2 v[16:17], v[14:15], off
	v_mul_f64 v[14:15], v[18:19], s[2:3]
	s_waitcnt lgkmcnt(0)
	v_mul_f32_e32 v18, v130, v11
	v_fmac_f32_e32 v18, v129, v10
	v_mul_f32_e32 v10, v130, v10
	v_mul_f64 v[0:1], v[0:1], s[2:3]
	v_fma_f32 v10, v129, v11, -v10
	v_cvt_f64_f32_e32 v[10:11], v10
	v_cvt_f64_f32_e32 v[18:19], v18
	s_mulk_i32 s1, 0xb2a8
	v_mul_f64 v[10:11], v[10:11], s[2:3]
	v_cvt_f32_f64_e32 v0, v[0:1]
	v_cvt_f32_f64_e32 v1, v[14:15]
	v_mul_f64 v[14:15], v[18:19], s[2:3]
	v_mov_b32_e32 v19, s4
	v_add_co_u32_e32 v18, vcc, s5, v16
	v_addc_co_u32_e32 v19, vcc, v17, v19, vcc
	global_store_dwordx2 v[18:19], v[0:1], off
	v_cvt_f32_f64_e32 v1, v[10:11]
	v_mul_f32_e32 v10, v128, v5
	v_fmac_f32_e32 v10, v127, v4
	v_cvt_f64_f32_e32 v[10:11], v10
	v_mul_f32_e32 v4, v128, v4
	v_cvt_f32_f64_e32 v0, v[14:15]
	v_fma_f32 v4, v127, v5, -v4
	ds_read2_b64 v[14:17], v145 offset0:4 offset1:229
	v_cvt_f64_f32_e32 v[4:5], v4
	v_mul_f64 v[10:11], v[10:11], s[2:3]
	v_add_co_u32_e32 v18, vcc, s5, v18
	v_addc_co_u32_e32 v19, vcc, v19, v20, vcc
	v_mul_f64 v[4:5], v[4:5], s[2:3]
	s_waitcnt lgkmcnt(0)
	v_mul_f32_e32 v20, v123, v15
	v_fmac_f32_e32 v20, v122, v14
	v_cvt_f64_f32_e32 v[20:21], v20
	v_mul_f32_e32 v14, v123, v14
	v_fma_f32 v14, v122, v15, -v14
	v_cvt_f64_f32_e32 v[14:15], v14
	global_store_dwordx2 v[18:19], v[0:1], off
	v_cvt_f32_f64_e32 v0, v[10:11]
	v_mul_f64 v[10:11], v[20:21], s[2:3]
	v_mad_u64_u32 v[18:19], s[6:7], s0, v142, v[18:19]
	v_mul_f64 v[14:15], v[14:15], s[2:3]
	v_cvt_f32_f64_e32 v1, v[4:5]
	s_sub_i32 s6, s1, s0
	v_add_u32_e32 v19, s6, v19
	v_mov_b32_e32 v20, s4
	global_store_dwordx2 v[18:19], v[0:1], off
	v_mul_f32_e32 v0, v121, v3
	v_fmac_f32_e32 v0, v120, v2
	v_cvt_f32_f64_e32 v4, v[10:11]
	v_cvt_f64_f32_e32 v[10:11], v0
	v_mul_f32_e32 v0, v121, v2
	v_fma_f32 v0, v120, v3, -v0
	v_cvt_f32_f64_e32 v5, v[14:15]
	v_cvt_f64_f32_e32 v[14:15], v0
	ds_read2_b64 v[0:3], v144 offset0:10 offset1:235
	v_add_co_u32_e32 v18, vcc, s5, v18
	v_addc_co_u32_e32 v19, vcc, v19, v20, vcc
	global_store_dwordx2 v[18:19], v[4:5], off
	v_mul_f64 v[4:5], v[10:11], s[2:3]
	v_mul_f64 v[10:11], v[14:15], s[2:3]
	s_waitcnt lgkmcnt(0)
	v_mul_f32_e32 v14, v126, v1
	v_fmac_f32_e32 v14, v125, v0
	v_mul_f32_e32 v0, v126, v0
	v_fma_f32 v0, v125, v1, -v0
	v_cvt_f64_f32_e32 v[14:15], v14
	v_cvt_f64_f32_e32 v[0:1], v0
	v_cvt_f32_f64_e32 v4, v[4:5]
	v_cvt_f32_f64_e32 v5, v[10:11]
	v_mul_f64 v[10:11], v[14:15], s[2:3]
	v_mul_f64 v[0:1], v[0:1], s[2:3]
	v_mov_b32_e32 v15, s4
	v_add_co_u32_e32 v14, vcc, s5, v18
	v_addc_co_u32_e32 v15, vcc, v19, v15, vcc
	global_store_dwordx2 v[14:15], v[4:5], off
	v_cvt_f32_f64_e32 v4, v[10:11]
	v_cvt_f32_f64_e32 v5, v[0:1]
	v_mul_f32_e32 v0, v119, v13
	v_mul_f32_e32 v10, v119, v12
	v_fmac_f32_e32 v0, v118, v12
	v_fma_f32 v10, v118, v13, -v10
	v_cvt_f64_f32_e32 v[0:1], v0
	v_cvt_f64_f32_e32 v[10:11], v10
	v_mov_b32_e32 v18, s4
	v_add_co_u32_e32 v12, vcc, s5, v14
	v_addc_co_u32_e32 v13, vcc, v15, v18, vcc
	global_store_dwordx2 v[12:13], v[4:5], off
	v_mul_f64 v[0:1], v[0:1], s[2:3]
	v_mul_f64 v[4:5], v[10:11], s[2:3]
	v_mul_f32_e32 v10, v117, v7
	v_fmac_f32_e32 v10, v116, v6
	v_mul_f32_e32 v6, v117, v6
	v_fma_f32 v6, v116, v7, -v6
	v_cvt_f64_f32_e32 v[10:11], v10
	v_cvt_f64_f32_e32 v[6:7], v6
	v_cvt_f32_f64_e32 v0, v[0:1]
	v_cvt_f32_f64_e32 v1, v[4:5]
	v_mul_f64 v[4:5], v[10:11], s[2:3]
	v_mul_f64 v[6:7], v[6:7], s[2:3]
	v_mov_b32_e32 v11, s4
	v_add_co_u32_e32 v10, vcc, s5, v12
	v_addc_co_u32_e32 v11, vcc, v13, v11, vcc
	global_store_dwordx2 v[10:11], v[0:1], off
	v_cvt_f32_f64_e32 v0, v[4:5]
	v_cvt_f32_f64_e32 v1, v[6:7]
	v_mad_u64_u32 v[4:5], s[0:1], s0, v142, v[10:11]
	v_mul_f32_e32 v6, v115, v17
	v_mul_f32_e32 v10, v115, v16
	v_fmac_f32_e32 v6, v114, v16
	v_fma_f32 v10, v114, v17, -v10
	v_cvt_f64_f32_e32 v[6:7], v6
	v_cvt_f64_f32_e32 v[10:11], v10
	v_add_u32_e32 v5, s6, v5
	global_store_dwordx2 v[4:5], v[0:1], off
	v_mul_f64 v[0:1], v[6:7], s[2:3]
	v_mul_f64 v[6:7], v[10:11], s[2:3]
	v_mul_f32_e32 v10, v113, v9
	v_fmac_f32_e32 v10, v112, v8
	v_cvt_f64_f32_e32 v[10:11], v10
	v_mul_f32_e32 v8, v113, v8
	v_fma_f32 v8, v112, v9, -v8
	v_cvt_f64_f32_e32 v[8:9], v8
	v_cvt_f32_f64_e32 v0, v[0:1]
	v_cvt_f32_f64_e32 v1, v[6:7]
	v_mul_f64 v[6:7], v[10:11], s[2:3]
	v_mul_f64 v[8:9], v[8:9], s[2:3]
	v_mov_b32_e32 v10, s4
	v_add_co_u32_e32 v4, vcc, s5, v4
	v_addc_co_u32_e32 v5, vcc, v5, v10, vcc
	global_store_dwordx2 v[4:5], v[0:1], off
	v_cvt_f32_f64_e32 v0, v[6:7]
	v_mul_f32_e32 v6, v111, v3
	v_fmac_f32_e32 v6, v110, v2
	v_mul_f32_e32 v2, v111, v2
	v_fma_f32 v2, v110, v3, -v2
	v_cvt_f32_f64_e32 v1, v[8:9]
	v_cvt_f64_f32_e32 v[6:7], v6
	v_cvt_f64_f32_e32 v[2:3], v2
	ds_read_b64 v[8:9], v141 offset:25200
	v_add_co_u32_e32 v4, vcc, s5, v4
	v_addc_co_u32_e32 v5, vcc, v5, v10, vcc
	global_store_dwordx2 v[4:5], v[0:1], off
	v_mul_f64 v[0:1], v[6:7], s[2:3]
	v_mul_f64 v[2:3], v[2:3], s[2:3]
	s_waitcnt lgkmcnt(0)
	v_mul_f32_e32 v6, v109, v9
	v_fmac_f32_e32 v6, v108, v8
	v_mul_f32_e32 v8, v109, v8
	v_fma_f32 v8, v108, v9, -v8
	v_cvt_f64_f32_e32 v[6:7], v6
	v_cvt_f64_f32_e32 v[8:9], v8
	v_cvt_f32_f64_e32 v0, v[0:1]
	v_cvt_f32_f64_e32 v1, v[2:3]
	v_mul_f64 v[2:3], v[6:7], s[2:3]
	v_mul_f64 v[6:7], v[8:9], s[2:3]
	v_mov_b32_e32 v8, s4
	v_add_co_u32_e32 v4, vcc, s5, v4
	v_addc_co_u32_e32 v5, vcc, v5, v8, vcc
	global_store_dwordx2 v[4:5], v[0:1], off
	v_cvt_f32_f64_e32 v0, v[2:3]
	v_cvt_f32_f64_e32 v1, v[6:7]
	v_mov_b32_e32 v3, s4
	v_add_co_u32_e32 v2, vcc, s5, v4
	v_addc_co_u32_e32 v3, vcc, v5, v3, vcc
	global_store_dwordx2 v[2:3], v[0:1], off
.LBB0_2:
	s_endpgm
	.section	.rodata,"a",@progbits
	.p2align	6, 0x0
	.amdhsa_kernel bluestein_single_back_len3375_dim1_sp_op_CI_CI
		.amdhsa_group_segment_fixed_size 27000
		.amdhsa_private_segment_fixed_size 0
		.amdhsa_kernarg_size 104
		.amdhsa_user_sgpr_count 6
		.amdhsa_user_sgpr_private_segment_buffer 1
		.amdhsa_user_sgpr_dispatch_ptr 0
		.amdhsa_user_sgpr_queue_ptr 0
		.amdhsa_user_sgpr_kernarg_segment_ptr 1
		.amdhsa_user_sgpr_dispatch_id 0
		.amdhsa_user_sgpr_flat_scratch_init 0
		.amdhsa_user_sgpr_private_segment_size 0
		.amdhsa_uses_dynamic_stack 0
		.amdhsa_system_sgpr_private_segment_wavefront_offset 0
		.amdhsa_system_sgpr_workgroup_id_x 1
		.amdhsa_system_sgpr_workgroup_id_y 0
		.amdhsa_system_sgpr_workgroup_id_z 0
		.amdhsa_system_sgpr_workgroup_info 0
		.amdhsa_system_vgpr_workitem_id 0
		.amdhsa_next_free_vgpr 208
		.amdhsa_next_free_sgpr 20
		.amdhsa_reserve_vcc 1
		.amdhsa_reserve_flat_scratch 0
		.amdhsa_float_round_mode_32 0
		.amdhsa_float_round_mode_16_64 0
		.amdhsa_float_denorm_mode_32 3
		.amdhsa_float_denorm_mode_16_64 3
		.amdhsa_dx10_clamp 1
		.amdhsa_ieee_mode 1
		.amdhsa_fp16_overflow 0
		.amdhsa_exception_fp_ieee_invalid_op 0
		.amdhsa_exception_fp_denorm_src 0
		.amdhsa_exception_fp_ieee_div_zero 0
		.amdhsa_exception_fp_ieee_overflow 0
		.amdhsa_exception_fp_ieee_underflow 0
		.amdhsa_exception_fp_ieee_inexact 0
		.amdhsa_exception_int_div_zero 0
	.end_amdhsa_kernel
	.text
.Lfunc_end0:
	.size	bluestein_single_back_len3375_dim1_sp_op_CI_CI, .Lfunc_end0-bluestein_single_back_len3375_dim1_sp_op_CI_CI
                                        ; -- End function
	.section	.AMDGPU.csdata,"",@progbits
; Kernel info:
; codeLenInByte = 17824
; NumSgprs: 24
; NumVgprs: 208
; ScratchSize: 0
; MemoryBound: 0
; FloatMode: 240
; IeeeMode: 1
; LDSByteSize: 27000 bytes/workgroup (compile time only)
; SGPRBlocks: 2
; VGPRBlocks: 51
; NumSGPRsForWavesPerEU: 24
; NumVGPRsForWavesPerEU: 208
; Occupancy: 1
; WaveLimiterHint : 1
; COMPUTE_PGM_RSRC2:SCRATCH_EN: 0
; COMPUTE_PGM_RSRC2:USER_SGPR: 6
; COMPUTE_PGM_RSRC2:TRAP_HANDLER: 0
; COMPUTE_PGM_RSRC2:TGID_X_EN: 1
; COMPUTE_PGM_RSRC2:TGID_Y_EN: 0
; COMPUTE_PGM_RSRC2:TGID_Z_EN: 0
; COMPUTE_PGM_RSRC2:TIDIG_COMP_CNT: 0
	.type	__hip_cuid_7788d2c0541135c4,@object ; @__hip_cuid_7788d2c0541135c4
	.section	.bss,"aw",@nobits
	.globl	__hip_cuid_7788d2c0541135c4
__hip_cuid_7788d2c0541135c4:
	.byte	0                               ; 0x0
	.size	__hip_cuid_7788d2c0541135c4, 1

	.ident	"AMD clang version 19.0.0git (https://github.com/RadeonOpenCompute/llvm-project roc-6.4.0 25133 c7fe45cf4b819c5991fe208aaa96edf142730f1d)"
	.section	".note.GNU-stack","",@progbits
	.addrsig
	.addrsig_sym __hip_cuid_7788d2c0541135c4
	.amdgpu_metadata
---
amdhsa.kernels:
  - .args:
      - .actual_access:  read_only
        .address_space:  global
        .offset:         0
        .size:           8
        .value_kind:     global_buffer
      - .actual_access:  read_only
        .address_space:  global
        .offset:         8
        .size:           8
        .value_kind:     global_buffer
      - .actual_access:  read_only
        .address_space:  global
        .offset:         16
        .size:           8
        .value_kind:     global_buffer
      - .actual_access:  read_only
        .address_space:  global
        .offset:         24
        .size:           8
        .value_kind:     global_buffer
      - .actual_access:  read_only
        .address_space:  global
        .offset:         32
        .size:           8
        .value_kind:     global_buffer
      - .offset:         40
        .size:           8
        .value_kind:     by_value
      - .address_space:  global
        .offset:         48
        .size:           8
        .value_kind:     global_buffer
      - .address_space:  global
        .offset:         56
        .size:           8
        .value_kind:     global_buffer
      - .address_space:  global
        .offset:         64
        .size:           8
        .value_kind:     global_buffer
      - .address_space:  global
        .offset:         72
        .size:           8
        .value_kind:     global_buffer
      - .offset:         80
        .size:           4
        .value_kind:     by_value
      - .address_space:  global
        .offset:         88
        .size:           8
        .value_kind:     global_buffer
      - .address_space:  global
        .offset:         96
        .size:           8
        .value_kind:     global_buffer
    .group_segment_fixed_size: 27000
    .kernarg_segment_align: 8
    .kernarg_segment_size: 104
    .language:       OpenCL C
    .language_version:
      - 2
      - 0
    .max_flat_workgroup_size: 225
    .name:           bluestein_single_back_len3375_dim1_sp_op_CI_CI
    .private_segment_fixed_size: 0
    .sgpr_count:     24
    .sgpr_spill_count: 0
    .symbol:         bluestein_single_back_len3375_dim1_sp_op_CI_CI.kd
    .uniform_work_group_size: 1
    .uses_dynamic_stack: false
    .vgpr_count:     208
    .vgpr_spill_count: 0
    .wavefront_size: 64
amdhsa.target:   amdgcn-amd-amdhsa--gfx906
amdhsa.version:
  - 1
  - 2
...

	.end_amdgpu_metadata
